;; amdgpu-corpus repo=ROCm/rocFFT kind=compiled arch=gfx906 opt=O3
	.text
	.amdgcn_target "amdgcn-amd-amdhsa--gfx906"
	.amdhsa_code_object_version 6
	.protected	fft_rtc_fwd_len1785_factors_17_3_5_7_wgs_119_tpt_119_halfLds_half_op_CI_CI_sbrr_dirReg ; -- Begin function fft_rtc_fwd_len1785_factors_17_3_5_7_wgs_119_tpt_119_halfLds_half_op_CI_CI_sbrr_dirReg
	.globl	fft_rtc_fwd_len1785_factors_17_3_5_7_wgs_119_tpt_119_halfLds_half_op_CI_CI_sbrr_dirReg
	.p2align	8
	.type	fft_rtc_fwd_len1785_factors_17_3_5_7_wgs_119_tpt_119_halfLds_half_op_CI_CI_sbrr_dirReg,@function
fft_rtc_fwd_len1785_factors_17_3_5_7_wgs_119_tpt_119_halfLds_half_op_CI_CI_sbrr_dirReg: ; @fft_rtc_fwd_len1785_factors_17_3_5_7_wgs_119_tpt_119_halfLds_half_op_CI_CI_sbrr_dirReg
; %bb.0:
	s_load_dwordx4 s[16:19], s[4:5], 0x18
	s_load_dwordx4 s[8:11], s[4:5], 0x0
	;; [unrolled: 1-line block ×3, first 2 shown]
	v_mul_u32_u24_e32 v1, 0x227, v0
	v_add_u32_sdwa v10, s6, v1 dst_sel:DWORD dst_unused:UNUSED_PAD src0_sel:DWORD src1_sel:WORD_1
	s_waitcnt lgkmcnt(0)
	s_load_dwordx2 s[22:23], s[16:17], 0x0
	s_load_dwordx2 s[20:21], s[18:19], 0x0
	v_cmp_lt_u64_e64 s[0:1], s[10:11], 2
	v_mov_b32_e32 v8, 0
	v_mov_b32_e32 v1, 0
	;; [unrolled: 1-line block ×3, first 2 shown]
	s_and_b64 vcc, exec, s[0:1]
	v_mov_b32_e32 v2, 0
	s_cbranch_vccnz .LBB0_8
; %bb.1:
	s_load_dwordx2 s[0:1], s[4:5], 0x10
	s_add_u32 s2, s18, 8
	s_addc_u32 s3, s19, 0
	s_add_u32 s6, s16, 8
	v_mov_b32_e32 v1, 0
	s_addc_u32 s7, s17, 0
	v_mov_b32_e32 v2, 0
	s_waitcnt lgkmcnt(0)
	s_add_u32 s24, s0, 8
	v_mov_b32_e32 v5, v2
	s_addc_u32 s25, s1, 0
	s_mov_b64 s[26:27], 1
	v_mov_b32_e32 v4, v1
.LBB0_2:                                ; =>This Inner Loop Header: Depth=1
	s_load_dwordx2 s[28:29], s[24:25], 0x0
                                        ; implicit-def: $vgpr6_vgpr7
	s_waitcnt lgkmcnt(0)
	v_or_b32_e32 v9, s29, v11
	v_cmp_ne_u64_e32 vcc, 0, v[8:9]
	s_and_saveexec_b64 s[0:1], vcc
	s_xor_b64 s[30:31], exec, s[0:1]
	s_cbranch_execz .LBB0_4
; %bb.3:                                ;   in Loop: Header=BB0_2 Depth=1
	v_cvt_f32_u32_e32 v3, s28
	v_cvt_f32_u32_e32 v6, s29
	s_sub_u32 s0, 0, s28
	s_subb_u32 s1, 0, s29
	v_mac_f32_e32 v3, 0x4f800000, v6
	v_rcp_f32_e32 v3, v3
	v_mul_f32_e32 v3, 0x5f7ffffc, v3
	v_mul_f32_e32 v6, 0x2f800000, v3
	v_trunc_f32_e32 v6, v6
	v_mac_f32_e32 v3, 0xcf800000, v6
	v_cvt_u32_f32_e32 v6, v6
	v_cvt_u32_f32_e32 v3, v3
	v_mul_lo_u32 v7, s0, v6
	v_mul_hi_u32 v9, s0, v3
	v_mul_lo_u32 v13, s1, v3
	v_mul_lo_u32 v12, s0, v3
	v_add_u32_e32 v7, v9, v7
	v_add_u32_e32 v7, v7, v13
	v_mul_hi_u32 v9, v3, v12
	v_mul_lo_u32 v13, v3, v7
	v_mul_hi_u32 v15, v3, v7
	v_mul_hi_u32 v14, v6, v12
	v_mul_lo_u32 v12, v6, v12
	v_mul_hi_u32 v16, v6, v7
	v_add_co_u32_e32 v9, vcc, v9, v13
	v_addc_co_u32_e32 v13, vcc, 0, v15, vcc
	v_mul_lo_u32 v7, v6, v7
	v_add_co_u32_e32 v9, vcc, v9, v12
	v_addc_co_u32_e32 v9, vcc, v13, v14, vcc
	v_addc_co_u32_e32 v12, vcc, 0, v16, vcc
	v_add_co_u32_e32 v7, vcc, v9, v7
	v_addc_co_u32_e32 v9, vcc, 0, v12, vcc
	v_add_co_u32_e32 v3, vcc, v3, v7
	v_addc_co_u32_e32 v6, vcc, v6, v9, vcc
	v_mul_lo_u32 v7, s0, v6
	v_mul_hi_u32 v9, s0, v3
	v_mul_lo_u32 v12, s1, v3
	v_mul_lo_u32 v13, s0, v3
	v_add_u32_e32 v7, v9, v7
	v_add_u32_e32 v7, v7, v12
	v_mul_lo_u32 v14, v3, v7
	v_mul_hi_u32 v15, v3, v13
	v_mul_hi_u32 v16, v3, v7
	;; [unrolled: 1-line block ×3, first 2 shown]
	v_mul_lo_u32 v13, v6, v13
	v_mul_hi_u32 v9, v6, v7
	v_add_co_u32_e32 v14, vcc, v15, v14
	v_addc_co_u32_e32 v15, vcc, 0, v16, vcc
	v_mul_lo_u32 v7, v6, v7
	v_add_co_u32_e32 v13, vcc, v14, v13
	v_addc_co_u32_e32 v12, vcc, v15, v12, vcc
	v_addc_co_u32_e32 v9, vcc, 0, v9, vcc
	v_add_co_u32_e32 v7, vcc, v12, v7
	v_addc_co_u32_e32 v9, vcc, 0, v9, vcc
	v_add_co_u32_e32 v3, vcc, v3, v7
	v_addc_co_u32_e32 v9, vcc, v6, v9, vcc
	v_mad_u64_u32 v[6:7], s[0:1], v10, v9, 0
	v_mul_hi_u32 v12, v10, v3
	v_add_co_u32_e32 v14, vcc, v12, v6
	v_addc_co_u32_e32 v15, vcc, 0, v7, vcc
	v_mad_u64_u32 v[6:7], s[0:1], v11, v3, 0
	v_mad_u64_u32 v[12:13], s[0:1], v11, v9, 0
	v_add_co_u32_e32 v3, vcc, v14, v6
	v_addc_co_u32_e32 v3, vcc, v15, v7, vcc
	v_addc_co_u32_e32 v6, vcc, 0, v13, vcc
	v_add_co_u32_e32 v3, vcc, v3, v12
	v_addc_co_u32_e32 v9, vcc, 0, v6, vcc
	v_mul_lo_u32 v12, s29, v3
	v_mul_lo_u32 v13, s28, v9
	v_mad_u64_u32 v[6:7], s[0:1], s28, v3, 0
	v_add3_u32 v7, v7, v13, v12
	v_sub_u32_e32 v12, v11, v7
	v_mov_b32_e32 v13, s29
	v_sub_co_u32_e32 v6, vcc, v10, v6
	v_subb_co_u32_e64 v12, s[0:1], v12, v13, vcc
	v_subrev_co_u32_e64 v13, s[0:1], s28, v6
	v_subbrev_co_u32_e64 v12, s[0:1], 0, v12, s[0:1]
	v_cmp_le_u32_e64 s[0:1], s29, v12
	v_cndmask_b32_e64 v14, 0, -1, s[0:1]
	v_cmp_le_u32_e64 s[0:1], s28, v13
	v_cndmask_b32_e64 v13, 0, -1, s[0:1]
	v_cmp_eq_u32_e64 s[0:1], s29, v12
	v_cndmask_b32_e64 v12, v14, v13, s[0:1]
	v_add_co_u32_e64 v13, s[0:1], 2, v3
	v_addc_co_u32_e64 v14, s[0:1], 0, v9, s[0:1]
	v_add_co_u32_e64 v15, s[0:1], 1, v3
	v_addc_co_u32_e64 v16, s[0:1], 0, v9, s[0:1]
	v_subb_co_u32_e32 v7, vcc, v11, v7, vcc
	v_cmp_ne_u32_e64 s[0:1], 0, v12
	v_cmp_le_u32_e32 vcc, s29, v7
	v_cndmask_b32_e64 v12, v16, v14, s[0:1]
	v_cndmask_b32_e64 v14, 0, -1, vcc
	v_cmp_le_u32_e32 vcc, s28, v6
	v_cndmask_b32_e64 v6, 0, -1, vcc
	v_cmp_eq_u32_e32 vcc, s29, v7
	v_cndmask_b32_e32 v6, v14, v6, vcc
	v_cmp_ne_u32_e32 vcc, 0, v6
	v_cndmask_b32_e64 v6, v15, v13, s[0:1]
	v_cndmask_b32_e32 v7, v9, v12, vcc
	v_cndmask_b32_e32 v6, v3, v6, vcc
.LBB0_4:                                ;   in Loop: Header=BB0_2 Depth=1
	s_andn2_saveexec_b64 s[0:1], s[30:31]
	s_cbranch_execz .LBB0_6
; %bb.5:                                ;   in Loop: Header=BB0_2 Depth=1
	v_cvt_f32_u32_e32 v3, s28
	s_sub_i32 s30, 0, s28
	v_rcp_iflag_f32_e32 v3, v3
	v_mul_f32_e32 v3, 0x4f7ffffe, v3
	v_cvt_u32_f32_e32 v3, v3
	v_mul_lo_u32 v6, s30, v3
	v_mul_hi_u32 v6, v3, v6
	v_add_u32_e32 v3, v3, v6
	v_mul_hi_u32 v3, v10, v3
	v_mul_lo_u32 v6, v3, s28
	v_add_u32_e32 v7, 1, v3
	v_sub_u32_e32 v6, v10, v6
	v_subrev_u32_e32 v9, s28, v6
	v_cmp_le_u32_e32 vcc, s28, v6
	v_cndmask_b32_e32 v6, v6, v9, vcc
	v_cndmask_b32_e32 v3, v3, v7, vcc
	v_add_u32_e32 v7, 1, v3
	v_cmp_le_u32_e32 vcc, s28, v6
	v_cndmask_b32_e32 v6, v3, v7, vcc
	v_mov_b32_e32 v7, v8
.LBB0_6:                                ;   in Loop: Header=BB0_2 Depth=1
	s_or_b64 exec, exec, s[0:1]
	v_mul_lo_u32 v3, v7, s28
	v_mul_lo_u32 v9, v6, s29
	v_mad_u64_u32 v[12:13], s[0:1], v6, s28, 0
	s_load_dwordx2 s[0:1], s[6:7], 0x0
	s_load_dwordx2 s[28:29], s[2:3], 0x0
	v_add3_u32 v3, v13, v9, v3
	v_sub_co_u32_e32 v9, vcc, v10, v12
	v_subb_co_u32_e32 v3, vcc, v11, v3, vcc
	s_waitcnt lgkmcnt(0)
	v_mul_lo_u32 v10, s0, v3
	v_mul_lo_u32 v11, s1, v9
	v_mad_u64_u32 v[1:2], s[0:1], s0, v9, v[1:2]
	s_add_u32 s26, s26, 1
	s_addc_u32 s27, s27, 0
	s_add_u32 s2, s2, 8
	v_mul_lo_u32 v3, s28, v3
	v_mul_lo_u32 v12, s29, v9
	v_mad_u64_u32 v[4:5], s[0:1], s28, v9, v[4:5]
	v_add3_u32 v2, v11, v2, v10
	s_addc_u32 s3, s3, 0
	v_mov_b32_e32 v9, s10
	s_add_u32 s6, s6, 8
	v_mov_b32_e32 v10, s11
	s_addc_u32 s7, s7, 0
	v_cmp_ge_u64_e32 vcc, s[26:27], v[9:10]
	s_add_u32 s24, s24, 8
	v_add3_u32 v5, v12, v5, v3
	s_addc_u32 s25, s25, 0
	s_cbranch_vccnz .LBB0_9
; %bb.7:                                ;   in Loop: Header=BB0_2 Depth=1
	v_mov_b32_e32 v11, v7
	v_mov_b32_e32 v10, v6
	s_branch .LBB0_2
.LBB0_8:
	v_mov_b32_e32 v5, v2
	v_mov_b32_e32 v6, v10
	;; [unrolled: 1-line block ×4, first 2 shown]
.LBB0_9:
	s_load_dwordx2 s[0:1], s[4:5], 0x28
	s_mov_b32 s4, 0x226b903
	v_mul_hi_u32 v3, v0, s4
	s_lshl_b64 s[2:3], s[10:11], 3
	s_add_u32 s4, s18, s2
	s_waitcnt lgkmcnt(0)
	v_cmp_gt_u64_e32 vcc, s[0:1], v[6:7]
	v_mul_u32_u24_e32 v3, 0x77, v3
	v_sub_u32_e32 v8, v0, v3
	s_movk_i32 s0, 0x69
	v_cmp_gt_u32_e64 s[0:1], s0, v8
	s_addc_u32 s5, s19, s3
	s_and_b64 s[10:11], vcc, s[0:1]
	v_mov_b32_e32 v0, 0
	v_mov_b32_e32 v17, 0
                                        ; implicit-def: $vgpr18
                                        ; implicit-def: $vgpr9
                                        ; implicit-def: $vgpr19
                                        ; implicit-def: $vgpr10
                                        ; implicit-def: $vgpr20
                                        ; implicit-def: $vgpr11
                                        ; implicit-def: $vgpr22
                                        ; implicit-def: $vgpr12
                                        ; implicit-def: $vgpr27
                                        ; implicit-def: $vgpr13
                                        ; implicit-def: $vgpr28
                                        ; implicit-def: $vgpr14
                                        ; implicit-def: $vgpr29
                                        ; implicit-def: $vgpr15
                                        ; implicit-def: $vgpr23
                                        ; implicit-def: $vgpr16
                                        ; implicit-def: $vgpr38
                                        ; implicit-def: $vgpr24
                                        ; implicit-def: $vgpr33
                                        ; implicit-def: $vgpr21
                                        ; implicit-def: $vgpr35
                                        ; implicit-def: $vgpr25
                                        ; implicit-def: $vgpr39
                                        ; implicit-def: $vgpr26
                                        ; implicit-def: $vgpr40
                                        ; implicit-def: $vgpr30
                                        ; implicit-def: $vgpr37
                                        ; implicit-def: $vgpr31
                                        ; implicit-def: $vgpr36
                                        ; implicit-def: $vgpr32
                                        ; implicit-def: $vgpr34
	s_and_saveexec_b64 s[6:7], s[10:11]
	s_cbranch_execz .LBB0_11
; %bb.10:
	s_add_u32 s2, s16, s2
	s_addc_u32 s3, s17, s3
	s_load_dwordx2 s[2:3], s[2:3], 0x0
	v_mad_u64_u32 v[9:10], s[10:11], s22, v8, 0
	v_add_u32_e32 v35, 0x3b1, v8
	v_mov_b32_e32 v0, v10
	s_waitcnt lgkmcnt(0)
	v_mul_lo_u32 v3, s3, v6
	v_mul_lo_u32 v15, s2, v7
	v_mad_u64_u32 v[11:12], s[2:3], s2, v6, 0
	v_mad_u64_u32 v[13:14], s[2:3], s23, v8, v[0:1]
	v_add3_u32 v12, v12, v15, v3
	v_lshlrev_b64 v[11:12], 2, v[11:12]
	v_mov_b32_e32 v10, v13
	v_mov_b32_e32 v0, s13
	v_add_co_u32_e64 v11, s[2:3], s12, v11
	v_add_u32_e32 v13, 0x69, v8
	v_addc_co_u32_e64 v12, s[2:3], v0, v12, s[2:3]
	v_lshlrev_b64 v[0:1], 2, v[1:2]
	v_mad_u64_u32 v[2:3], s[2:3], s22, v13, 0
	v_add_co_u32_e64 v38, s[2:3], v11, v0
	v_addc_co_u32_e64 v41, s[2:3], v12, v1, s[2:3]
	v_lshlrev_b64 v[0:1], 2, v[9:10]
	v_mad_u64_u32 v[9:10], s[2:3], s23, v13, v[3:4]
	v_add_u32_e32 v12, 0xd2, v8
	v_mad_u64_u32 v[10:11], s[2:3], s22, v12, 0
	v_add_co_u32_e64 v16, s[2:3], v38, v0
	v_mov_b32_e32 v3, v9
	v_addc_co_u32_e64 v17, s[2:3], v41, v1, s[2:3]
	v_lshlrev_b64 v[0:1], 2, v[2:3]
	v_mov_b32_e32 v2, v11
	v_mad_u64_u32 v[2:3], s[2:3], s23, v12, v[2:3]
	v_add_u32_e32 v3, 0x13b, v8
	v_mad_u64_u32 v[12:13], s[2:3], s22, v3, 0
	v_add_co_u32_e64 v18, s[2:3], v38, v0
	v_mov_b32_e32 v11, v2
	v_mov_b32_e32 v2, v13
	v_addc_co_u32_e64 v19, s[2:3], v41, v1, s[2:3]
	v_mad_u64_u32 v[2:3], s[2:3], s23, v3, v[2:3]
	v_add_u32_e32 v3, 0x1a4, v8
	v_lshlrev_b64 v[0:1], 2, v[10:11]
	v_mad_u64_u32 v[9:10], s[2:3], s22, v3, 0
	v_add_co_u32_e64 v20, s[2:3], v38, v0
	v_mov_b32_e32 v13, v2
	v_mov_b32_e32 v2, v10
	v_addc_co_u32_e64 v21, s[2:3], v41, v1, s[2:3]
	v_mad_u64_u32 v[2:3], s[2:3], s23, v3, v[2:3]
	v_add_u32_e32 v3, 0x20d, v8
	v_lshlrev_b64 v[0:1], 2, v[12:13]
	v_mad_u64_u32 v[11:12], s[2:3], s22, v3, 0
	v_add_co_u32_e64 v22, s[2:3], v38, v0
	v_mov_b32_e32 v10, v2
	v_mov_b32_e32 v2, v12
	v_addc_co_u32_e64 v23, s[2:3], v41, v1, s[2:3]
	v_mad_u64_u32 v[2:3], s[2:3], s23, v3, v[2:3]
	v_add_u32_e32 v3, 0x276, v8
	v_lshlrev_b64 v[0:1], 2, v[9:10]
	v_mad_u64_u32 v[9:10], s[2:3], s22, v3, 0
	v_add_co_u32_e64 v24, s[2:3], v38, v0
	v_mov_b32_e32 v12, v2
	v_mov_b32_e32 v2, v10
	v_addc_co_u32_e64 v25, s[2:3], v41, v1, s[2:3]
	v_mad_u64_u32 v[2:3], s[2:3], s23, v3, v[2:3]
	v_add_u32_e32 v3, 0x2df, v8
	v_lshlrev_b64 v[0:1], 2, v[11:12]
	v_mad_u64_u32 v[11:12], s[2:3], s22, v3, 0
	v_add_co_u32_e64 v26, s[2:3], v38, v0
	v_mov_b32_e32 v10, v2
	v_mov_b32_e32 v2, v12
	v_addc_co_u32_e64 v27, s[2:3], v41, v1, s[2:3]
	v_mad_u64_u32 v[2:3], s[2:3], s23, v3, v[2:3]
	v_lshlrev_b64 v[0:1], 2, v[9:10]
	v_add_u32_e32 v9, 0x348, v8
	v_add_co_u32_e64 v28, s[2:3], v38, v0
	v_addc_co_u32_e64 v29, s[2:3], v41, v1, s[2:3]
	v_mov_b32_e32 v12, v2
	v_mad_u64_u32 v[2:3], s[2:3], s22, v9, 0
	v_lshlrev_b64 v[0:1], 2, v[11:12]
	v_add_co_u32_e64 v30, s[2:3], v38, v0
	v_mov_b32_e32 v0, v3
	v_addc_co_u32_e64 v31, s[2:3], v41, v1, s[2:3]
	v_mad_u64_u32 v[32:33], s[2:3], s23, v9, v[0:1]
	v_mad_u64_u32 v[33:34], s[2:3], s22, v35, 0
	v_mov_b32_e32 v3, v32
	v_lshlrev_b64 v[1:2], 2, v[2:3]
	v_mov_b32_e32 v3, v34
	global_load_dword v0, v[16:17], off
	global_load_dword v9, v[18:19], off
	;; [unrolled: 1-line block ×8, first 2 shown]
	v_mad_u64_u32 v[17:18], s[2:3], s23, v35, v[3:4]
	v_add_u32_e32 v3, 0x41a, v8
	v_mad_u64_u32 v[18:19], s[2:3], s22, v3, 0
	v_add_co_u32_e64 v1, s[2:3], v38, v1
	v_addc_co_u32_e64 v2, s[2:3], v41, v2, s[2:3]
	global_load_dword v16, v[1:2], off
	v_mov_b32_e32 v1, v19
	v_mad_u64_u32 v[1:2], s[2:3], s23, v3, v[1:2]
	v_add_u32_e32 v22, 0x483, v8
	v_mad_u64_u32 v[2:3], s[2:3], s22, v22, 0
	v_mov_b32_e32 v19, v1
	v_mov_b32_e32 v34, v17
	;; [unrolled: 1-line block ×3, first 2 shown]
	v_lshlrev_b64 v[17:18], 2, v[18:19]
	v_mad_u64_u32 v[22:23], s[2:3], s23, v22, v[1:2]
	v_add_u32_e32 v19, 0x4ec, v8
	v_mad_u64_u32 v[23:24], s[2:3], s22, v19, 0
	v_mov_b32_e32 v3, v22
	v_add_co_u32_e64 v17, s[2:3], v38, v17
	v_lshlrev_b64 v[1:2], 2, v[2:3]
	v_mov_b32_e32 v3, v24
	v_addc_co_u32_e64 v18, s[2:3], v41, v18, s[2:3]
	v_mad_u64_u32 v[24:25], s[2:3], s23, v19, v[3:4]
	v_add_u32_e32 v19, 0x555, v8
	v_mad_u64_u32 v[25:26], s[2:3], s22, v19, 0
	v_add_co_u32_e64 v1, s[2:3], v38, v1
	v_mov_b32_e32 v3, v26
	v_addc_co_u32_e64 v2, s[2:3], v41, v2, s[2:3]
	v_mad_u64_u32 v[26:27], s[2:3], s23, v19, v[3:4]
	v_add_u32_e32 v19, 0x5be, v8
	v_mad_u64_u32 v[27:28], s[2:3], s22, v19, 0
	v_lshlrev_b64 v[22:23], 2, v[23:24]
	v_lshlrev_b64 v[24:25], 2, v[25:26]
	v_add_co_u32_e64 v22, s[2:3], v38, v22
	v_mov_b32_e32 v3, v28
	v_addc_co_u32_e64 v23, s[2:3], v41, v23, s[2:3]
	v_mad_u64_u32 v[28:29], s[2:3], s23, v19, v[3:4]
	v_add_u32_e32 v19, 0x627, v8
	v_mad_u64_u32 v[29:30], s[2:3], s22, v19, 0
	v_add_co_u32_e64 v24, s[2:3], v38, v24
	v_mov_b32_e32 v3, v30
	v_addc_co_u32_e64 v25, s[2:3], v41, v25, s[2:3]
	v_mad_u64_u32 v[30:31], s[2:3], s23, v19, v[3:4]
	v_lshlrev_b64 v[26:27], 2, v[27:28]
	v_add_u32_e32 v19, 0x690, v8
	v_add_co_u32_e64 v26, s[2:3], v38, v26
	v_addc_co_u32_e64 v27, s[2:3], v41, v27, s[2:3]
	v_lshlrev_b64 v[28:29], 2, v[29:30]
	v_mad_u64_u32 v[30:31], s[2:3], s22, v19, 0
	v_add_co_u32_e64 v28, s[2:3], v38, v28
	v_mov_b32_e32 v3, v31
	v_addc_co_u32_e64 v29, s[2:3], v41, v29, s[2:3]
	v_mad_u64_u32 v[31:32], s[2:3], s23, v19, v[3:4]
	v_lshlrev_b64 v[20:21], 2, v[33:34]
	global_load_dword v34, v[17:18], off
	global_load_dword v33, v[1:2], off
	global_load_dword v36, v[22:23], off
	global_load_dword v37, v[24:25], off
	global_load_dword v35, v[26:27], off
	global_load_dword v39, v[28:29], off
	v_lshlrev_b64 v[1:2], 2, v[30:31]
	s_waitcnt vmcnt(13)
	v_lshrrev_b32_e32 v18, 16, v9
	v_add_co_u32_e64 v1, s[2:3], v38, v1
	v_addc_co_u32_e64 v2, s[2:3], v41, v2, s[2:3]
	global_load_dword v40, v[1:2], off
	v_add_co_u32_e64 v1, s[2:3], v38, v20
	v_addc_co_u32_e64 v2, s[2:3], v41, v21, s[2:3]
	global_load_dword v38, v[1:2], off
	s_mov_b32 s2, 0x7060302
	s_waitcnt vmcnt(14)
	v_lshrrev_b32_e32 v19, 16, v10
	s_waitcnt vmcnt(13)
	v_lshrrev_b32_e32 v20, 16, v11
	;; [unrolled: 2-line block ×14, first 2 shown]
	s_waitcnt vmcnt(0)
	v_perm_b32 v17, v0, v38, s2
.LBB0_11:
	s_or_b64 exec, exec, s[6:7]
	v_add_f16_e32 v48, v9, v40
	s_mov_b32 s6, 0x3b7639e9
	v_sub_f16_e32 v47, v18, v26
	v_pk_mul_f16 v1, v48, s6 op_sel_hi:[0,1]
	s_mov_b32 s18, 0xb5c8b964
	v_pk_fma_f16 v2, v47, s18, v1 op_sel_hi:[0,1,1]
	s_mov_b32 s7, 0x39e92de8
	v_add_f16_e32 v50, v10, v39
	v_pk_add_f16 v3, v0, v2 op_sel_hi:[0,1]
	s_mov_b32 s19, 0xb964bbf7
	v_sub_f16_e32 v49, v19, v25
	v_pk_mul_f16 v2, v50, s7 op_sel_hi:[0,1]
	v_pk_fma_f16 v41, v49, s19, v2 op_sel_hi:[0,1,1]
	s_mov_b32 s10, 0x3722b8d2
	v_add_f16_e32 v52, v11, v35
	v_pk_add_f16 v3, v41, v3
	s_mov_b32 s22, 0xbb29ba62
	v_sub_f16_e32 v51, v20, v21
	v_pk_mul_f16 v41, v52, s10 op_sel_hi:[0,1]
	v_pk_fma_f16 v42, v51, s22, v41 op_sel_hi:[0,1,1]
	s_mov_b32 s11, 0x2de8bbdd
	v_add_f16_e32 v54, v12, v37
	v_pk_add_f16 v3, v42, v3
	;; [unrolled: 7-line block ×6, first 2 shown]
	s_mov_b32 s27, 0xb1e135c8
	v_sub_f16_e32 v61, v23, v17
	v_pk_mul_f16 v46, v62, s17 op_sel_hi:[0,1]
	v_pk_fma_f16 v63, v61, s27, v46 op_sel_hi:[0,1,1]
	v_pk_add_f16 v3, v63, v3
	s_and_saveexec_b64 s[2:3], s[0:1]
	s_cbranch_execz .LBB0_13
; %bb.12:
	s_mov_b32 s28, 0x5040100
	v_perm_b32 v64, v0, v0, s28
	v_add_f16_e32 v0, v0, v9
	v_add_f16_e32 v0, v0, v10
	v_add_f16_e32 v0, v0, v11
	v_add_f16_e32 v0, v0, v12
	v_add_f16_e32 v0, v0, v13
	v_add_f16_e32 v0, v0, v14
	v_add_f16_e32 v0, v0, v15
	v_add_f16_e32 v0, v0, v16
	v_add_f16_e32 v0, v0, v38
	v_add_f16_e32 v0, v0, v34
	v_add_f16_e32 v0, v33, v0
	v_add_f16_e32 v0, v36, v0
	v_add_f16_e32 v0, v37, v0
	v_add_f16_e32 v0, v35, v0
	v_add_f16_e32 v0, v39, v0
	v_pack_b32_f16 v63, v47, v47
	v_pk_mul_f16 v47, v47, s18 op_sel_hi:[0,1]
	v_add_f16_e32 v0, v40, v0
	v_mad_u32_u24 v88, v8, 34, 0
	v_pack_b32_f16 v65, v49, v49
	v_pk_mul_f16 v49, v49, s19 op_sel_hi:[0,1]
	ds_write_b16 v88, v0
	v_pk_add_f16 v0, v1, v47 neg_lo:[0,1] neg_hi:[0,1]
	v_pack_b32_f16 v66, v51, v51
	v_pk_mul_f16 v51, v51, s22 op_sel_hi:[0,1]
	v_pk_add_f16 v0, v64, v0
	v_pk_add_f16 v1, v2, v49 neg_lo:[0,1] neg_hi:[0,1]
	v_pack_b32_f16 v67, v53, v53
	v_pk_mul_f16 v53, v53, s23 op_sel_hi:[0,1]
	v_pk_add_f16 v0, v1, v0
	;; [unrolled: 4-line block ×6, first 2 shown]
	v_pk_add_f16 v1, v45, v59 neg_lo:[0,1] neg_hi:[0,1]
	v_pack_b32_f16 v48, v48, v48
	s_mov_b32 s28, 0xbbddbacd
	s_mov_b32 s45, 0x2de83722
	v_pk_add_f16 v0, v0, v1
	v_pk_add_f16 v1, v46, v61 neg_lo:[0,1] neg_hi:[0,1]
	v_pack_b32_f16 v50, v50, v50
	v_pk_mul_f16 v72, v48, s28
	s_mov_b32 s29, 0x3b763722
	v_pk_mul_f16 v80, v48, s13
	v_pk_mul_f16 v48, v48, s45
	s_mov_b32 s45, 0xbbf7bb29
	s_mov_b32 s46, 0xbbddb8d2
	v_pk_add_f16 v0, v1, v0
	v_pack_b32_f16 v52, v52, v52
	v_pk_mul_f16 v73, v50, s29
	s_mov_b32 s30, 0xbacd2de8
	v_pk_mul_f16 v81, v50, s12
	v_pk_mul_f16 v50, v50, s46
	s_mov_b32 s46, 0xb1e1ba62
	s_mov_b32 s47, 0xb461bbdd
	v_alignbit_b32 v41, v0, v0, 16
	v_pk_fma_f16 v0, v63, s45, v48 neg_lo:[1,0,0] neg_hi:[1,0,0]
	v_pack_b32_f16 v54, v54, v54
	v_pk_mul_f16 v74, v52, s30
	s_mov_b32 s31, 0x39e9b8d2
	v_pk_mul_f16 v82, v52, s6
	v_pk_mul_f16 v52, v52, s47
	s_mov_b32 s47, 0x3bb231e1
	s_mov_b32 s48, 0x3b76b461
	v_pk_add_f16 v0, v64, v0
	v_pk_fma_f16 v1, v65, s46, v50 neg_lo:[1,0,0] neg_hi:[1,0,0]
	v_pack_b32_f16 v56, v56, v56
	v_pk_mul_f16 v75, v54, s31
	s_mov_b32 s33, 0xb8d23b76
	v_pk_mul_f16 v83, v54, s16
	v_pk_mul_f16 v54, v54, s48
	s_mov_b32 s48, 0x35c83bb2
	s_mov_b32 s49, 0x372239e9
	v_pk_add_f16 v0, v1, v0
	;; [unrolled: 9-line block ×5, first 2 shown]
	v_pk_fma_f16 v1, v69, s50, v58 neg_lo:[1,0,0] neg_hi:[1,0,0]
	v_pk_mul_f16 v79, v62, s36
	v_pk_mul_f16 v87, v62, s10
	;; [unrolled: 1-line block ×3, first 2 shown]
	s_mov_b32 s52, 0x3964b836
	v_pk_add_f16 v0, v1, v0
	v_pk_fma_f16 v1, v70, s51, v60 neg_lo:[1,0,0] neg_hi:[1,0,0]
	s_mov_b32 s37, 0xba62bbb2
	v_pk_add_f16 v0, v0, v1
	v_pk_fma_f16 v1, v71, s52, v62 neg_lo:[1,0,0] neg_hi:[1,0,0]
	;; [unrolled: 3-line block ×17, first 2 shown]
	v_pk_add_f16 v0, v0, v1
	v_pk_fma_f16 v1, v71, s36, v79 neg_lo:[1,0,0] neg_hi:[1,0,0]
	v_pk_add_f16 v44, v1, v0
	v_pk_fma_f16 v0, v63, s28, v72
	v_pk_add_f16 v0, v64, v0
	v_pk_fma_f16 v1, v65, s29, v73
	;; [unrolled: 2-line block ×17, first 2 shown]
	ds_write_b128 v88, v[41:44] offset:2
	v_pk_add_f16 v2, v64, v2
	v_pk_fma_f16 v41, v65, s46, v50
	v_pk_add_f16 v2, v41, v2
	v_pk_fma_f16 v41, v66, s47, v52
	;; [unrolled: 2-line block ×7, first 2 shown]
	v_pk_add_f16 v2, v41, v2
	v_alignbit_b32 v0, v0, v0, 16
	v_alignbit_b32 v1, v1, v1, 16
	;; [unrolled: 1-line block ×3, first 2 shown]
	ds_write_b128 v88, v[0:3] offset:18
.LBB0_13:
	s_or_b64 exec, exec, s[2:3]
	v_sub_f16_e32 v62, v9, v40
	v_lshl_add_u32 v9, v8, 1, 0
	v_sub_f16_e32 v60, v10, v39
	v_sub_f16_e32 v57, v11, v35
	;; [unrolled: 1-line block ×7, first 2 shown]
	s_waitcnt lgkmcnt(0)
	s_barrier
	ds_read_u16 v33, v9 offset:1428
	ds_read_u16 v16, v9 offset:1666
	ds_read_u16 v14, v9
	ds_read_u16 v13, v9 offset:238
	ds_read_u16 v12, v9 offset:476
	ds_read_u16 v11, v9 offset:714
	ds_read_u16 v34, v9 offset:1904
	ds_read_u16 v39, v9 offset:1190
	ds_read_u16 v10, v9 offset:952
	ds_read_u16 v38, v9 offset:2618
	ds_read_u16 v37, v9 offset:2856
	ds_read_u16 v36, v9 offset:3094
	ds_read_u16 v15, v9 offset:3332
	ds_read_u16 v40, v9 offset:2380
	ds_read_u16 v35, v9 offset:2142
	v_add_f16_e32 v61, v18, v26
	v_pk_mul_f16 v0, v62, s18 op_sel_hi:[0,1]
	v_add_f16_e32 v59, v19, v25
	v_pk_fma_f16 v1, v61, s6, v0 op_sel_hi:[0,1,1] neg_lo:[0,0,1] neg_hi:[0,0,1]
	v_pk_mul_f16 v41, v60, s19 op_sel_hi:[0,1]
	v_add_f16_e32 v56, v20, v21
	v_pk_add_f16 v1, v17, v1 op_sel:[1,0]
	v_pk_fma_f16 v2, v59, s7, v41 op_sel_hi:[0,1,1] neg_lo:[0,0,1] neg_hi:[0,0,1]
	v_pk_mul_f16 v42, v57, s22 op_sel_hi:[0,1]
	v_add_f16_e32 v54, v22, v30
	v_pk_add_f16 v1, v2, v1
	v_pk_fma_f16 v2, v56, s10, v42 op_sel_hi:[0,1,1] neg_lo:[0,0,1] neg_hi:[0,0,1]
	v_pk_mul_f16 v43, v55, s23 op_sel_hi:[0,1]
	v_add_f16_e32 v51, v27, v31
	v_pk_add_f16 v1, v2, v1
	;; [unrolled: 4-line block ×4, first 2 shown]
	v_pk_fma_f16 v2, v49, s13, v53 op_sel_hi:[0,1,1] neg_lo:[0,0,1] neg_hi:[0,0,1]
	v_pk_mul_f16 v58, v47, s26 op_sel_hi:[0,1]
	v_pk_add_f16 v1, v2, v1
	v_pk_fma_f16 v2, v46, s16, v58 op_sel_hi:[0,1,1] neg_lo:[0,0,1] neg_hi:[0,0,1]
	v_add_f16_e32 v44, v23, v17
	v_pk_add_f16 v2, v1, v2
	v_pk_mul_f16 v1, v45, s27 op_sel_hi:[0,1]
	v_pk_fma_f16 v63, v44, s17, v1 op_sel_hi:[0,1,1] neg_lo:[0,0,1] neg_hi:[0,0,1]
	v_pk_add_f16 v2, v63, v2
	s_waitcnt lgkmcnt(0)
	s_barrier
	s_and_saveexec_b64 s[2:3], s[0:1]
	s_cbranch_execz .LBB0_15
; %bb.14:
	v_add_f16_sdwa v18, v17, v18 dst_sel:DWORD dst_unused:UNUSED_PAD src0_sel:WORD_1 src1_sel:DWORD
	v_add_f16_e32 v18, v18, v19
	v_add_f16_e32 v18, v18, v20
	;; [unrolled: 1-line block ×4, first 2 shown]
	s_mov_b32 s0, 0x7060302
	v_add_f16_e32 v18, v18, v28
	v_pack_b32_f16 v63, v61, v61
	v_pk_mul_f16 v61, v61, s6 op_sel_hi:[0,1]
	v_perm_b32 v64, v17, v17, s0
	v_add_f16_e32 v18, v18, v29
	s_mov_b32 s0, 0xffff
	v_pack_b32_f16 v65, v59, v59
	v_pk_mul_f16 v59, v59, s7 op_sel_hi:[0,1]
	v_bfi_b32 v18, s0, v18, v61
	v_bfi_b32 v23, s0, v23, v0
	v_add_f16_e32 v0, v61, v0
	v_pack_b32_f16 v66, v56, v56
	v_pk_mul_f16 v56, v56, s10 op_sel_hi:[0,1]
	v_pk_add_f16 v19, v59, v41
	v_pk_add_f16 v18, v18, v23
	v_add_f16_sdwa v0, v17, v0 dst_sel:DWORD dst_unused:UNUSED_PAD src0_sel:WORD_1 src1_sel:DWORD
	v_pack_b32_f16 v67, v54, v54
	v_pk_mul_f16 v54, v54, s11 op_sel_hi:[0,1]
	v_pk_add_f16 v20, v56, v42
	v_pk_add_f16 v18, v18, v17
	v_bfi_b32 v23, s0, v32, v19
	v_add_f16_e32 v0, v19, v0
	v_pack_b32_f16 v68, v51, v51
	v_pk_mul_f16 v51, v51, s12 op_sel_hi:[0,1]
	v_pk_add_f16 v22, v54, v43
	v_pk_add_f16 v18, v18, v23
	v_bfi_b32 v23, s0, v24, v20
	v_add_f16_e32 v0, v20, v0
	;; [unrolled: 6-line block ×5, first 2 shown]
	v_pack_b32_f16 v62, v62, v62
	v_pk_add_f16 v18, v21, v18
	v_bfi_b32 v21, s0, v25, v29
	v_pk_add_f16 v1, v44, v1
	v_add_f16_e32 v0, v0, v29
	s_mov_b32 s1, 0xbbf7bb29
	v_pack_b32_f16 v60, v60, v60
	v_pk_add_f16 v18, v21, v18
	v_bfi_b32 v21, s0, v26, v1
	v_add_f16_e32 v0, v1, v0
	s_mov_b32 s0, 0x2de83722
	v_pk_mul_f16 v1, v62, s1
	s_mov_b32 s6, 0xb1e1ba62
	v_pk_add_f16 v21, v21, v18
	v_pk_fma_f16 v17, v63, s0, v1
	s_mov_b32 s1, 0xbbddb8d2
	v_pk_mul_f16 v18, v60, s6
	v_pack_b32_f16 v57, v57, v57
	v_pk_add_f16 v17, v64, v17
	v_pk_fma_f16 v19, v65, s1, v18
	s_mov_b32 s7, 0x3bb231e1
	v_pk_add_f16 v17, v19, v17
	s_mov_b32 s6, 0xb461bbdd
	v_pk_mul_f16 v19, v57, s7
	v_pack_b32_f16 v55, v55, v55
	v_pk_fma_f16 v20, v66, s6, v19
	s_mov_b32 s10, 0x35c83bb2
	v_pk_add_f16 v17, v20, v17
	s_mov_b32 s7, 0x3b76b461
	v_pk_mul_f16 v20, v55, s10
	v_pack_b32_f16 v52, v52, v52
	v_pk_fma_f16 v22, v67, s7, v20
	s_mov_b32 s11, 0xbb293964
	v_pk_add_f16 v17, v22, v17
	s_mov_b32 s10, 0x372239e9
	v_pk_mul_f16 v22, v52, s11
	v_pk_fma_f16 v1, v63, s0, v1 neg_lo:[0,0,1] neg_hi:[0,0,1]
	v_pack_b32_f16 v50, v50, v50
	v_pk_fma_f16 v23, v68, s10, v22
	s_mov_b32 s12, 0xb836b5c8
	v_pk_add_f16 v1, v64, v1
	v_pk_fma_f16 v18, v65, s1, v18 neg_lo:[0,0,1] neg_hi:[0,0,1]
	v_pk_add_f16 v17, v17, v23
	s_mov_b32 s11, 0xbacd3b76
	v_pk_mul_f16 v23, v50, s12
	v_pk_add_f16 v1, v18, v1
	v_pk_fma_f16 v18, v66, s6, v19 neg_lo:[0,0,1] neg_hi:[0,0,1]
	v_pack_b32_f16 v47, v47, v47
	v_pk_fma_f16 v24, v69, s11, v23
	s_mov_b32 s13, 0x3a62bbf7
	v_pk_add_f16 v1, v18, v1
	v_pk_fma_f16 v18, v67, s7, v20 neg_lo:[0,0,1] neg_hi:[0,0,1]
	v_pk_add_f16 v17, v24, v17
	s_mov_b32 s12, 0xb8d22de8
	v_pk_mul_f16 v24, v47, s13
	v_pk_add_f16 v1, v18, v1
	;; [unrolled: 10-line block ×3, first 2 shown]
	v_pk_fma_f16 v18, v70, s12, v24 neg_lo:[0,0,1] neg_hi:[0,0,1]
	s_mov_b32 s1, 0xba62bbb2
	v_pk_add_f16 v1, v1, v18
	v_pk_fma_f16 v18, v71, s13, v25 neg_lo:[0,0,1] neg_hi:[0,0,1]
	s_mov_b32 s0, 0xb8d2b461
	v_pk_mul_f16 v19, v62, s1
	s_mov_b32 s6, 0x3bb23836
	v_pk_add_f16 v1, v18, v1
	v_pk_fma_f16 v18, v63, s0, v19
	s_mov_b32 s1, 0xb461bacd
	v_pk_mul_f16 v20, v60, s6
	v_pk_add_f16 v18, v64, v18
	v_pk_fma_f16 v22, v65, s1, v20
	s_mov_b32 s7, 0xb5c83964
	v_pk_add_f16 v18, v22, v18
	s_mov_b32 s6, 0x3b7639e9
	v_pk_mul_f16 v22, v57, s7
	v_pk_fma_f16 v23, v66, s6, v22
	s_mov_b32 s10, 0xb836bb29
	v_pk_add_f16 v18, v23, v18
	s_mov_b32 s7, 0xbacd3722
	v_pk_mul_f16 v23, v55, s10
	;; [unrolled: 5-line block ×3, first 2 shown]
	v_pk_fma_f16 v19, v63, s0, v19 neg_lo:[0,0,1] neg_hi:[0,0,1]
	v_pk_fma_f16 v26, v71, s13, v25
	v_pk_fma_f16 v25, v68, s10, v24
	s_mov_b32 s12, 0xb9643bf7
	v_pk_add_f16 v19, v64, v19
	v_pk_fma_f16 v20, v65, s1, v20 neg_lo:[0,0,1] neg_hi:[0,0,1]
	v_pk_add_f16 v18, v18, v25
	s_mov_b32 s11, 0x39e92de8
	v_pk_mul_f16 v25, v50, s12
	v_pk_add_f16 v19, v20, v19
	v_pk_fma_f16 v20, v66, s6, v22 neg_lo:[0,0,1] neg_hi:[0,0,1]
	v_pk_add_f16 v17, v26, v17
	v_pk_fma_f16 v26, v69, s11, v25
	s_mov_b32 s13, 0xb1e1b5c8
	v_pk_add_f16 v19, v20, v19
	v_pk_fma_f16 v20, v67, s7, v23 neg_lo:[0,0,1] neg_hi:[0,0,1]
	v_pk_add_f16 v18, v26, v18
	s_mov_b32 s12, 0xbbdd3b76
	v_pk_mul_f16 v26, v47, s13
	v_pk_add_f16 v19, v20, v19
	v_pk_fma_f16 v20, v68, s10, v24 neg_lo:[0,0,1] neg_hi:[0,0,1]
	v_pk_fma_f16 v27, v70, s12, v26
	s_mov_b32 s16, 0x3b29ba62
	v_pk_add_f16 v19, v19, v20
	v_pk_fma_f16 v20, v69, s11, v25 neg_lo:[0,0,1] neg_hi:[0,0,1]
	v_pk_add_f16 v18, v18, v27
	s_mov_b32 s13, 0x3722b8d2
	v_pk_mul_f16 v27, v45, s16
	v_pk_add_f16 v19, v20, v19
	v_pk_fma_f16 v20, v70, s12, v26 neg_lo:[0,0,1] neg_hi:[0,0,1]
	v_pk_add_f16 v19, v19, v20
	v_pk_fma_f16 v20, v71, s13, v27 neg_lo:[0,0,1] neg_hi:[0,0,1]
	s_mov_b32 s1, 0xb1e1b836
	v_pk_add_f16 v22, v20, v19
	s_mov_b32 s0, 0xbbddbacd
	v_pk_mul_f16 v20, v62, s1
	s_mov_b32 s6, 0x35c83b29
	v_pk_fma_f16 v19, v63, s0, v20
	s_mov_b32 s1, 0x3b763722
	v_pk_mul_f16 v23, v60, s6
	v_pk_add_f16 v19, v64, v19
	v_pk_fma_f16 v24, v65, s1, v23
	s_mov_b32 s7, 0xb836bbf7
	v_pk_add_f16 v19, v24, v19
	s_mov_b32 s6, 0xbacd2de8
	v_pk_mul_f16 v24, v57, s7
	v_pk_fma_f16 v25, v66, s6, v24
	s_mov_b32 s10, 0x39643a62
	v_pk_add_f16 v19, v25, v19
	s_mov_b32 s7, 0x39e9b8d2
	v_pk_mul_f16 v25, v55, s10
	;; [unrolled: 5-line block ×3, first 2 shown]
	v_pk_fma_f16 v20, v63, s0, v20 neg_lo:[0,0,1] neg_hi:[0,0,1]
	v_pk_fma_f16 v28, v71, s13, v27
	v_pk_fma_f16 v27, v68, s10, v26
	s_mov_b32 s12, 0x3b29b1e1
	v_pk_add_f16 v20, v64, v20
	v_pk_fma_f16 v23, v65, s1, v23 neg_lo:[0,0,1] neg_hi:[0,0,1]
	v_pk_add_f16 v19, v19, v27
	s_mov_b32 s11, 0x3722bbdd
	v_pk_mul_f16 v27, v50, s12
	v_pk_add_f16 v20, v23, v20
	v_pk_fma_f16 v23, v66, s6, v24 neg_lo:[0,0,1] neg_hi:[0,0,1]
	v_pk_add_f16 v18, v28, v18
	v_pk_fma_f16 v28, v69, s11, v27
	s_mov_b32 s13, 0xbbb23964
	v_pk_add_f16 v20, v23, v20
	v_pk_fma_f16 v23, v67, s7, v25 neg_lo:[0,0,1] neg_hi:[0,0,1]
	v_pk_add_f16 v19, v28, v19
	s_mov_b32 s12, 0xb46139e9
	v_pk_mul_f16 v28, v47, s13
	v_pk_add_f16 v20, v23, v20
	v_pk_fma_f16 v23, v68, s10, v26 neg_lo:[0,0,1] neg_hi:[0,0,1]
	v_pk_fma_f16 v29, v70, s12, v28
	s_mov_b32 s16, 0x3bf7bbb2
	v_pk_add_f16 v20, v20, v23
	v_pk_fma_f16 v23, v69, s11, v27 neg_lo:[0,0,1] neg_hi:[0,0,1]
	v_pk_add_f16 v19, v19, v29
	s_mov_b32 s13, 0x2de8b461
	v_pk_mul_f16 v29, v45, s16
	v_pk_add_f16 v20, v23, v20
	v_pk_fma_f16 v23, v70, s12, v28 neg_lo:[0,0,1] neg_hi:[0,0,1]
	v_pk_add_f16 v20, v20, v23
	v_pk_fma_f16 v23, v71, s13, v29 neg_lo:[0,0,1] neg_hi:[0,0,1]
	v_pk_fma_f16 v30, v71, s13, v29
	v_pk_add_f16 v20, v23, v20
	v_lshl_add_u32 v23, v8, 5, v9
	v_pk_add_f16 v19, v30, v19
	ds_write_b32 v23, v21
	ds_write_b16 v23, v0 offset:4
	v_alignbit_b32 v20, v20, v20, 16
	v_alignbit_b32 v0, v22, v22, 16
	v_alignbit_b32 v1, v1, v1, 16
	ds_write_b128 v23, v[17:20] offset:6
	ds_write_b96 v23, v[0:2] offset:22
.LBB0_15:
	s_or_b64 exec, exec, s[2:3]
	v_add_u32_e32 v1, 0x77, v8
	s_movk_i32 s0, 0xf1
	v_add_u32_e32 v0, 0xee, v8
	v_add_u32_e32 v23, 0x165, v8
	v_mul_lo_u16_sdwa v17, v8, s0 dst_sel:DWORD dst_unused:UNUSED_PAD src0_sel:BYTE_0 src1_sel:DWORD
	v_mul_lo_u16_sdwa v19, v1, s0 dst_sel:DWORD dst_unused:UNUSED_PAD src0_sel:BYTE_0 src1_sel:DWORD
	s_mov_b32 s0, 0xf0f1
	v_lshrrev_b16_e32 v27, 12, v17
	v_lshrrev_b16_e32 v29, 12, v19
	v_mul_u32_u24_sdwa v20, v0, s0 dst_sel:DWORD dst_unused:UNUSED_PAD src0_sel:WORD_0 src1_sel:DWORD
	v_mul_u32_u24_sdwa v22, v23, s0 dst_sel:DWORD dst_unused:UNUSED_PAD src0_sel:WORD_0 src1_sel:DWORD
	v_mul_lo_u16_e32 v17, 17, v27
	v_mul_lo_u16_e32 v19, 17, v29
	v_lshrrev_b32_e32 v31, 20, v20
	v_lshrrev_b32_e32 v41, 20, v22
	v_add_u32_e32 v25, 0x1dc, v8
	v_sub_u16_e32 v28, v8, v17
	v_mov_b32_e32 v17, 3
	v_sub_u16_e32 v30, v1, v19
	v_mul_lo_u16_e32 v20, 17, v31
	v_mul_lo_u16_e32 v24, 17, v41
	v_mul_u32_u24_sdwa v26, v25, s0 dst_sel:DWORD dst_unused:UNUSED_PAD src0_sel:WORD_0 src1_sel:DWORD
	v_lshlrev_b32_sdwa v18, v17, v28 dst_sel:DWORD dst_unused:UNUSED_PAD src0_sel:DWORD src1_sel:BYTE_0
	v_lshlrev_b32_sdwa v19, v17, v30 dst_sel:DWORD dst_unused:UNUSED_PAD src0_sel:DWORD src1_sel:BYTE_0
	v_sub_u16_e32 v32, v0, v20
	v_sub_u16_e32 v42, v23, v24
	v_lshrrev_b32_e32 v43, 20, v26
	s_load_dwordx2 s[2:3], s[4:5], 0x0
	s_waitcnt lgkmcnt(0)
	s_barrier
	global_load_dwordx2 v[17:18], v18, s[8:9]
	v_lshlrev_b32_e32 v21, 3, v32
	global_load_dwordx2 v[19:20], v19, s[8:9]
	v_lshlrev_b32_e32 v23, 3, v42
	global_load_dwordx2 v[21:22], v21, s[8:9]
	v_mul_lo_u16_e32 v26, 17, v43
	global_load_dwordx2 v[23:24], v23, s[8:9]
	v_sub_u16_e32 v44, v25, v26
	v_lshlrev_b32_e32 v25, 3, v44
	global_load_dwordx2 v[25:26], v25, s[8:9]
	ds_read_u16 v45, v9 offset:1428
	ds_read_u16 v46, v9 offset:1666
	ds_read_u16 v47, v9
	ds_read_u16 v48, v9 offset:238
	ds_read_u16 v49, v9 offset:476
	;; [unrolled: 1-line block ×12, first 2 shown]
	s_movk_i32 s0, 0x3aee
	s_mov_b32 s1, 0xbaee
	v_mov_b32_e32 v60, 1
	v_lshlrev_b32_sdwa v28, v60, v28 dst_sel:DWORD dst_unused:UNUSED_PAD src0_sel:DWORD src1_sel:BYTE_0
	v_lshlrev_b32_sdwa v30, v60, v30 dst_sel:DWORD dst_unused:UNUSED_PAD src0_sel:DWORD src1_sel:BYTE_0
	s_waitcnt vmcnt(0) lgkmcnt(0)
	s_barrier
	v_lshlrev_b32_e32 v32, 1, v32
	v_lshlrev_b32_e32 v42, 1, v42
	s_movk_i32 s7, 0x3b9c
	s_mov_b32 s11, 0xbb9c
	s_movk_i32 s6, 0x38b4
	s_mov_b32 s12, 0xb8b4
	s_movk_i32 s10, 0x34f2
	v_mul_f16_sdwa v61, v52, v17 dst_sel:DWORD dst_unused:UNUSED_PAD src0_sel:DWORD src1_sel:WORD_1
	v_mul_f16_sdwa v63, v58, v18 dst_sel:DWORD dst_unused:UNUSED_PAD src0_sel:DWORD src1_sel:WORD_1
	;; [unrolled: 1-line block ×4, first 2 shown]
	v_fma_f16 v33, v33, v19, -v65
	v_fma_f16 v19, v45, v19, v66
	v_mul_f16_sdwa v45, v56, v24 dst_sel:DWORD dst_unused:UNUSED_PAD src0_sel:DWORD src1_sel:WORD_1
	v_fma_f16 v45, v36, v24, -v45
	v_mul_f16_sdwa v36, v36, v24 dst_sel:DWORD dst_unused:UNUSED_PAD src0_sel:DWORD src1_sel:WORD_1
	v_fma_f16 v24, v56, v24, v36
	v_lshlrev_b32_e32 v36, 1, v44
	v_mul_f16_sdwa v44, v59, v25 dst_sel:DWORD dst_unused:UNUSED_PAD src0_sel:DWORD src1_sel:WORD_1
	v_fma_f16 v44, v35, v25, -v44
	v_mul_f16_sdwa v35, v35, v25 dst_sel:DWORD dst_unused:UNUSED_PAD src0_sel:DWORD src1_sel:WORD_1
	v_mul_f16_sdwa v62, v39, v17 dst_sel:DWORD dst_unused:UNUSED_PAD src0_sel:DWORD src1_sel:WORD_1
	;; [unrolled: 1-line block ×5, first 2 shown]
	v_fma_f16 v39, v39, v17, -v61
	v_fma_f16 v40, v40, v18, -v63
	v_fma_f16 v25, v59, v25, v35
	v_mul_f16_sdwa v35, v57, v26 dst_sel:DWORD dst_unused:UNUSED_PAD src0_sel:DWORD src1_sel:WORD_1
	v_fma_f16 v17, v52, v17, v62
	v_fma_f16 v18, v58, v18, v64
	v_fma_f16 v16, v16, v21, -v69
	v_fma_f16 v21, v46, v21, v70
	v_fma_f16 v35, v15, v26, -v35
	v_mul_f16_sdwa v15, v15, v26 dst_sel:DWORD dst_unused:UNUSED_PAD src0_sel:DWORD src1_sel:WORD_1
	v_add_f16_e32 v46, v39, v40
	v_mul_f16_sdwa v67, v54, v20 dst_sel:DWORD dst_unused:UNUSED_PAD src0_sel:DWORD src1_sel:WORD_1
	v_mul_f16_sdwa v73, v51, v23 dst_sel:DWORD dst_unused:UNUSED_PAD src0_sel:DWORD src1_sel:WORD_1
	;; [unrolled: 1-line block ×3, first 2 shown]
	v_fma_f16 v15, v57, v26, v15
	v_add_f16_e32 v26, v14, v39
	v_fma_f16 v14, v46, -0.5, v14
	v_sub_f16_e32 v46, v17, v18
	v_mul_f16_sdwa v68, v38, v20 dst_sel:DWORD dst_unused:UNUSED_PAD src0_sel:DWORD src1_sel:WORD_1
	v_fma_f16 v38, v38, v20, -v67
	v_fma_f16 v34, v34, v23, -v73
	v_fma_f16 v23, v51, v23, v74
	v_fma_f16 v51, v46, s0, v14
	;; [unrolled: 1-line block ×3, first 2 shown]
	v_add_f16_e32 v46, v47, v17
	v_add_f16_e32 v17, v17, v18
	v_fma_f16 v20, v54, v20, v68
	v_add_f16_e32 v26, v26, v40
	v_add_f16_e32 v46, v46, v18
	v_fma_f16 v17, v17, -0.5, v47
	v_sub_f16_e32 v18, v39, v40
	v_add_f16_e32 v40, v33, v38
	v_mul_f16_sdwa v71, v55, v22 dst_sel:DWORD dst_unused:UNUSED_PAD src0_sel:DWORD src1_sel:WORD_1
	v_fma_f16 v39, v18, s1, v17
	v_fma_f16 v17, v18, s0, v17
	v_add_f16_e32 v18, v13, v33
	v_fma_f16 v13, v40, -0.5, v13
	v_sub_f16_e32 v40, v19, v20
	v_mul_f16_sdwa v72, v37, v22 dst_sel:DWORD dst_unused:UNUSED_PAD src0_sel:DWORD src1_sel:WORD_1
	v_fma_f16 v37, v37, v22, -v71
	v_fma_f16 v47, v40, s0, v13
	v_fma_f16 v13, v40, s1, v13
	v_add_f16_e32 v40, v48, v19
	v_add_f16_e32 v19, v19, v20
	v_fma_f16 v22, v55, v22, v72
	v_add_f16_e32 v18, v18, v38
	v_add_f16_e32 v40, v40, v20
	v_fma_f16 v19, v19, -0.5, v48
	v_sub_f16_e32 v20, v33, v38
	v_add_f16_e32 v38, v16, v37
	v_fma_f16 v33, v20, s1, v19
	v_fma_f16 v19, v20, s0, v19
	v_add_f16_e32 v20, v12, v16
	v_fma_f16 v12, v38, -0.5, v12
	v_sub_f16_e32 v38, v21, v22
	v_fma_f16 v48, v38, s0, v12
	v_fma_f16 v12, v38, s1, v12
	v_add_f16_e32 v38, v49, v21
	v_add_f16_e32 v21, v21, v22
	v_add_f16_e32 v20, v20, v37
	v_fma_f16 v21, v21, -0.5, v49
	v_sub_f16_e32 v16, v16, v37
	v_add_f16_e32 v37, v34, v45
	v_add_f16_e32 v38, v38, v22
	v_fma_f16 v22, v16, s1, v21
	v_fma_f16 v16, v16, s0, v21
	v_add_f16_e32 v21, v11, v34
	v_fma_f16 v11, v37, -0.5, v11
	v_sub_f16_e32 v37, v23, v24
	v_fma_f16 v49, v37, s0, v11
	v_fma_f16 v11, v37, s1, v11
	v_add_f16_e32 v37, v50, v23
	v_add_f16_e32 v23, v23, v24
	v_add_f16_e32 v21, v21, v45
	v_add_f16_e32 v37, v37, v24
	v_fma_f16 v23, v23, -0.5, v50
	v_sub_f16_e32 v24, v34, v45
	v_add_f16_e32 v45, v44, v35
	v_fma_f16 v34, v24, s1, v23
	v_fma_f16 v23, v24, s0, v23
	v_add_f16_e32 v24, v10, v44
	v_fma_f16 v10, v45, -0.5, v10
	v_sub_f16_e32 v45, v25, v15
	v_fma_f16 v50, v45, s0, v10
	v_fma_f16 v10, v45, s1, v10
	v_add_f16_e32 v45, v53, v25
	v_add_f16_e32 v45, v45, v15
	;; [unrolled: 1-line block ×3, first 2 shown]
	v_fma_f16 v15, v15, -0.5, v53
	v_sub_f16_e32 v25, v44, v35
	v_add_f16_e32 v24, v24, v35
	v_fma_f16 v35, v25, s1, v15
	v_fma_f16 v15, v25, s0, v15
	v_mul_u32_u24_e32 v25, 0x66, v27
	v_add3_u32 v25, 0, v25, v28
	ds_write_b16 v25, v26
	ds_write_b16 v25, v51 offset:34
	ds_write_b16 v25, v14 offset:68
	v_mul_u32_u24_e32 v14, 0x66, v29
	v_add3_u32 v14, 0, v14, v30
	ds_write_b16 v14, v18
	ds_write_b16 v14, v47 offset:34
	ds_write_b16 v14, v13 offset:68
	;; [unrolled: 5-line block ×4, first 2 shown]
	v_mul_u32_u24_e32 v11, 0x66, v43
	v_add3_u32 v11, 0, v11, v36
	s_movk_i32 s0, 0xa1
	ds_write_b16 v11, v24
	ds_write_b16 v11, v50 offset:34
	ds_write_b16 v11, v10 offset:68
	v_mul_lo_u16_sdwa v10, v8, s0 dst_sel:DWORD dst_unused:UNUSED_PAD src0_sel:BYTE_0 src1_sel:DWORD
	s_waitcnt lgkmcnt(0)
	s_barrier
	ds_read_u16 v26, v9
	ds_read_u16 v27, v9 offset:238
	ds_read_u16 v28, v9 offset:952
	;; [unrolled: 1-line block ×14, first 2 shown]
	s_waitcnt lgkmcnt(0)
	s_barrier
	ds_write_b16 v25, v46
	ds_write_b16 v25, v39 offset:34
	ds_write_b16 v25, v17 offset:68
	ds_write_b16 v14, v40
	ds_write_b16 v14, v33 offset:34
	ds_write_b16 v14, v19 offset:68
	;; [unrolled: 3-line block ×5, first 2 shown]
	v_lshrrev_b16_e32 v14, 13, v10
	v_mul_lo_u16_e32 v10, 51, v14
	v_sub_u16_e32 v25, v8, v10
	v_mov_b32_e32 v15, 4
	v_lshlrev_b32_sdwa v10, v15, v25 dst_sel:DWORD dst_unused:UNUSED_PAD src0_sel:DWORD src1_sel:BYTE_0
	s_waitcnt lgkmcnt(0)
	s_barrier
	global_load_dwordx4 v[10:13], v10, s[8:9] offset:136
	v_mul_lo_u16_sdwa v16, v1, s0 dst_sel:DWORD dst_unused:UNUSED_PAD src0_sel:BYTE_0 src1_sel:DWORD
	v_lshrrev_b16_e32 v33, 13, v16
	v_mul_lo_u16_e32 v16, 51, v33
	v_sub_u16_e32 v61, v1, v16
	v_lshlrev_b32_sdwa v15, v15, v61 dst_sel:DWORD dst_unused:UNUSED_PAD src0_sel:DWORD src1_sel:BYTE_0
	global_load_dwordx4 v[17:20], v15, s[8:9] offset:136
	s_mov_b32 s0, 0xa0a1
	v_mul_u32_u24_sdwa v15, v0, s0 dst_sel:DWORD dst_unused:UNUSED_PAD src0_sel:WORD_0 src1_sel:DWORD
	v_lshrrev_b32_e32 v62, 21, v15
	v_mul_lo_u16_e32 v15, 51, v62
	v_sub_u16_e32 v63, v0, v15
	v_lshlrev_b32_e32 v15, 4, v63
	global_load_dwordx4 v[21:24], v15, s[8:9] offset:136
	ds_read_u16 v34, v9
	ds_read_u16 v15, v9 offset:238
	ds_read_u16 v35, v9 offset:952
	;; [unrolled: 1-line block ×14, first 2 shown]
	v_mul_u32_u24_e32 v14, 0x1fe, v14
	v_lshlrev_b32_sdwa v25, v60, v25 dst_sel:DWORD dst_unused:UNUSED_PAD src0_sel:DWORD src1_sel:BYTE_0
	s_waitcnt vmcnt(0) lgkmcnt(0)
	s_barrier
	v_cmp_gt_u32_e64 s[0:1], 17, v8
	v_mul_f16_sdwa v43, v40, v10 dst_sel:DWORD dst_unused:UNUSED_PAD src0_sel:DWORD src1_sel:WORD_1
	v_fma_f16 v51, v36, v10, -v43
	v_mul_f16_sdwa v36, v36, v10 dst_sel:DWORD dst_unused:UNUSED_PAD src0_sel:DWORD src1_sel:WORD_1
	v_fma_f16 v43, v40, v10, v36
	v_mul_f16_sdwa v10, v39, v11 dst_sel:DWORD dst_unused:UNUSED_PAD src0_sel:DWORD src1_sel:WORD_1
	v_fma_f16 v53, v31, v11, -v10
	v_mul_f16_sdwa v10, v31, v11 dst_sel:DWORD dst_unused:UNUSED_PAD src0_sel:DWORD src1_sel:WORD_1
	v_fma_f16 v47, v39, v11, v10
	;; [unrolled: 4-line block ×12, first 2 shown]
	v_add_f16_e32 v10, v26, v51
	v_add_f16_e32 v10, v10, v53
	;; [unrolled: 1-line block ×5, first 2 shown]
	v_fma_f16 v10, v10, -0.5, v26
	v_sub_f16_e32 v12, v43, v50
	v_fma_f16 v13, v12, s7, v10
	v_sub_f16_e32 v20, v47, v48
	v_sub_f16_e32 v21, v51, v53
	;; [unrolled: 1-line block ×3, first 2 shown]
	v_fma_f16 v10, v12, s11, v10
	v_fma_f16 v13, v20, s6, v13
	v_add_f16_e32 v21, v21, v22
	v_fma_f16 v10, v20, s12, v10
	v_fma_f16 v13, v21, s10, v13
	;; [unrolled: 1-line block ×3, first 2 shown]
	v_add_f16_e32 v10, v51, v55
	v_fma_f16 v10, v10, -0.5, v26
	v_fma_f16 v22, v20, s11, v10
	v_sub_f16_e32 v23, v53, v51
	v_sub_f16_e32 v24, v54, v55
	v_fma_f16 v10, v20, s7, v10
	v_add_f16_e32 v23, v23, v24
	v_fma_f16 v10, v12, s12, v10
	v_fma_f16 v22, v12, s6, v22
	;; [unrolled: 1-line block ×3, first 2 shown]
	v_add_f16_e32 v10, v27, v44
	v_add_f16_e32 v10, v10, v46
	v_add_f16_e32 v10, v10, v49
	v_add_f16_e32 v20, v10, v52
	v_add_f16_e32 v10, v46, v49
	v_fma_f16 v22, v23, s10, v22
	v_fma_f16 v10, v10, -0.5, v27
	v_sub_f16_e32 v23, v36, v42
	v_fma_f16 v24, v23, s7, v10
	v_sub_f16_e32 v26, v39, v40
	v_sub_f16_e32 v28, v44, v46
	;; [unrolled: 1-line block ×3, first 2 shown]
	v_fma_f16 v10, v23, s11, v10
	v_fma_f16 v24, v26, s6, v24
	v_add_f16_e32 v28, v28, v29
	v_fma_f16 v10, v26, s12, v10
	v_fma_f16 v24, v28, s10, v24
	;; [unrolled: 1-line block ×3, first 2 shown]
	v_add_f16_e32 v10, v44, v52
	v_fma_f16 v10, v10, -0.5, v27
	v_fma_f16 v27, v26, s11, v10
	v_sub_f16_e32 v29, v46, v44
	v_sub_f16_e32 v30, v49, v52
	v_fma_f16 v10, v26, s7, v10
	v_add_f16_e32 v29, v29, v30
	v_fma_f16 v10, v23, s12, v10
	v_fma_f16 v27, v23, s6, v27
	;; [unrolled: 1-line block ×3, first 2 shown]
	v_add_f16_e32 v10, v56, v37
	v_add_f16_e32 v10, v10, v38
	;; [unrolled: 1-line block ×5, first 2 shown]
	v_fma_f16 v27, v29, s10, v27
	v_fma_f16 v10, v10, -0.5, v56
	v_sub_f16_e32 v29, v17, v35
	v_fma_f16 v30, v29, s7, v10
	v_sub_f16_e32 v31, v18, v19
	v_sub_f16_e32 v32, v37, v38
	;; [unrolled: 1-line block ×3, first 2 shown]
	v_fma_f16 v10, v29, s11, v10
	v_fma_f16 v30, v31, s6, v30
	v_add_f16_e32 v32, v32, v57
	v_fma_f16 v10, v31, s12, v10
	v_fma_f16 v30, v32, s10, v30
	;; [unrolled: 1-line block ×3, first 2 shown]
	v_add_f16_e32 v32, v37, v45
	v_fma_f16 v32, v32, -0.5, v56
	v_fma_f16 v56, v31, s11, v32
	v_sub_f16_e32 v57, v38, v37
	v_sub_f16_e32 v58, v41, v45
	v_fma_f16 v56, v29, s6, v56
	v_add_f16_e32 v57, v57, v58
	v_fma_f16 v59, v57, s10, v56
	v_fma_f16 v31, v31, s7, v32
	v_add3_u32 v56, 0, v14, v25
	v_fma_f16 v29, v29, s12, v31
	ds_write_b16 v56, v11
	ds_write_b16 v56, v13 offset:102
	ds_write_b16 v56, v22 offset:204
	;; [unrolled: 1-line block ×4, first 2 shown]
	v_mul_u32_u24_e32 v11, 0x1fe, v33
	v_lshlrev_b32_sdwa v12, v60, v61 dst_sel:DWORD dst_unused:UNUSED_PAD src0_sel:DWORD src1_sel:BYTE_0
	v_fma_f16 v29, v57, s10, v29
	v_add3_u32 v57, 0, v11, v12
	v_mul_u32_u24_e32 v11, 0x1fe, v62
	v_lshlrev_b32_e32 v12, 1, v63
	v_add3_u32 v58, 0, v11, v12
	ds_write_b16 v57, v20
	ds_write_b16 v57, v24 offset:102
	ds_write_b16 v57, v27 offset:204
	;; [unrolled: 1-line block ×4, first 2 shown]
	ds_write_b16 v58, v26
	ds_write_b16 v58, v30 offset:102
	ds_write_b16 v58, v59 offset:204
	ds_write_b16 v58, v29 offset:306
	ds_write_b16 v58, v10 offset:408
	s_waitcnt lgkmcnt(0)
	s_barrier
	ds_read_u16 v20, v9
	ds_read_u16 v21, v9 offset:2040
	ds_read_u16 v28, v9 offset:1768
	;; [unrolled: 1-line block ×13, first 2 shown]
                                        ; implicit-def: $vgpr12
                                        ; implicit-def: $vgpr11
                                        ; implicit-def: $vgpr13
                                        ; implicit-def: $vgpr14
	s_and_saveexec_b64 s[4:5], s[0:1]
	s_cbranch_execz .LBB0_17
; %bb.16:
	ds_read_u16 v10, v9 offset:476
	ds_read_u16 v3, v9 offset:986
	;; [unrolled: 1-line block ×7, first 2 shown]
	s_mov_b32 s13, 0x5040100
	s_waitcnt lgkmcnt(4)
	v_perm_b32 v3, v59, v3, s13
.LBB0_17:
	s_or_b64 exec, exec, s[4:5]
	v_add_f16_e32 v60, v47, v48
	v_fma_f16 v60, v60, -0.5, v34
	v_sub_f16_e32 v51, v51, v55
	v_fma_f16 v55, v51, s11, v60
	v_sub_f16_e32 v53, v53, v54
	v_add_f16_e32 v59, v34, v43
	v_fma_f16 v54, v53, s12, v55
	v_sub_f16_e32 v55, v43, v47
	v_sub_f16_e32 v61, v50, v48
	v_fma_f16 v60, v51, s7, v60
	v_add_f16_e32 v59, v59, v47
	v_add_f16_e32 v55, v55, v61
	v_fma_f16 v60, v53, s6, v60
	v_add_f16_e32 v59, v59, v48
	v_fma_f16 v54, v55, s10, v54
	v_fma_f16 v55, v55, s10, v60
	v_add_f16_e32 v60, v43, v50
	v_sub_f16_e32 v43, v47, v43
	v_sub_f16_e32 v47, v48, v50
	v_add_f16_e32 v48, v39, v40
	v_fma_f16 v34, v60, -0.5, v34
	v_fma_f16 v48, v48, -0.5, v15
	v_sub_f16_e32 v44, v44, v52
	v_add_f16_e32 v59, v59, v50
	v_fma_f16 v60, v53, s7, v34
	v_fma_f16 v34, v53, s11, v34
	;; [unrolled: 1-line block ×3, first 2 shown]
	v_sub_f16_e32 v46, v46, v49
	v_fma_f16 v60, v51, s12, v60
	v_fma_f16 v34, v51, s6, v34
	;; [unrolled: 1-line block ×3, first 2 shown]
	v_sub_f16_e32 v50, v36, v39
	v_sub_f16_e32 v51, v42, v40
	v_fma_f16 v48, v44, s7, v48
	v_add_f16_e32 v50, v50, v51
	v_fma_f16 v48, v46, s6, v48
	v_add_f16_e32 v43, v43, v47
	v_fma_f16 v49, v50, s10, v49
	v_fma_f16 v48, v50, s10, v48
	v_add_f16_e32 v50, v36, v42
	v_fma_f16 v47, v43, s10, v60
	v_fma_f16 v34, v43, s10, v34
	v_add_f16_e32 v43, v15, v36
	v_fma_f16 v15, v50, -0.5, v15
	v_add_f16_e32 v43, v43, v39
	v_fma_f16 v50, v46, s7, v15
	v_sub_f16_e32 v36, v39, v36
	v_sub_f16_e32 v39, v40, v42
	v_fma_f16 v15, v46, s11, v15
	v_fma_f16 v50, v44, s12, v50
	v_add_f16_e32 v36, v36, v39
	v_fma_f16 v15, v44, s6, v15
	v_fma_f16 v39, v36, s10, v50
	;; [unrolled: 1-line block ×3, first 2 shown]
	v_add_f16_e32 v15, v16, v17
	v_add_f16_e32 v15, v15, v18
	;; [unrolled: 1-line block ×6, first 2 shown]
	v_fma_f16 v15, v15, -0.5, v16
	v_sub_f16_e32 v37, v37, v45
	v_add_f16_e32 v43, v43, v42
	v_fma_f16 v42, v37, s11, v15
	v_sub_f16_e32 v38, v38, v41
	v_fma_f16 v41, v38, s12, v42
	v_sub_f16_e32 v42, v17, v18
	v_sub_f16_e32 v44, v35, v19
	v_fma_f16 v15, v37, s7, v15
	v_add_f16_e32 v42, v42, v44
	v_fma_f16 v15, v38, s6, v15
	v_fma_f16 v41, v42, s10, v41
	;; [unrolled: 1-line block ×3, first 2 shown]
	v_add_f16_e32 v42, v17, v35
	v_fma_f16 v16, v42, -0.5, v16
	v_fma_f16 v42, v38, s7, v16
	v_sub_f16_e32 v17, v18, v17
	v_sub_f16_e32 v18, v19, v35
	v_fma_f16 v16, v38, s11, v16
	v_fma_f16 v42, v37, s12, v42
	v_add_f16_e32 v17, v17, v18
	v_fma_f16 v16, v37, s6, v16
	v_fma_f16 v18, v17, s10, v42
	;; [unrolled: 1-line block ×3, first 2 shown]
	s_waitcnt lgkmcnt(0)
	s_barrier
	ds_write_b16 v56, v59
	ds_write_b16 v56, v54 offset:102
	ds_write_b16 v56, v47 offset:204
	ds_write_b16 v56, v34 offset:306
	ds_write_b16 v56, v55 offset:408
	ds_write_b16 v57, v43
	ds_write_b16 v57, v49 offset:102
	ds_write_b16 v57, v39 offset:204
	ds_write_b16 v57, v36 offset:306
	ds_write_b16 v57, v48 offset:408
	;; [unrolled: 5-line block ×3, first 2 shown]
	s_waitcnt lgkmcnt(0)
	s_barrier
	ds_read_u16 v34, v9
	ds_read_u16 v35, v9 offset:2040
	ds_read_u16 v43, v9 offset:1768
	;; [unrolled: 1-line block ×13, first 2 shown]
                                        ; implicit-def: $vgpr17
                                        ; implicit-def: $vgpr16
                                        ; implicit-def: $vgpr18
                                        ; implicit-def: $vgpr19
	s_and_saveexec_b64 s[4:5], s[0:1]
	s_cbranch_execz .LBB0_19
; %bb.18:
	ds_read_u16 v15, v9 offset:476
	ds_read_u16 v2, v9 offset:986
	;; [unrolled: 1-line block ×7, first 2 shown]
	s_mov_b32 s6, 0x5040100
	s_waitcnt lgkmcnt(4)
	v_perm_b32 v2, v48, v2, s6
.LBB0_19:
	s_or_b64 exec, exec, s[4:5]
	s_and_saveexec_b64 s[4:5], vcc
	s_cbranch_execz .LBB0_22
; %bb.20:
	v_mul_u32_u24_e32 v9, 6, v1
	v_lshlrev_b32_e32 v9, 2, v9
	global_load_dwordx4 v[48:51], v9, s[8:9] offset:952
	global_load_dwordx2 v[56:57], v9, s[8:9] offset:968
	v_mul_u32_u24_e32 v52, 6, v8
	v_lshlrev_b32_e32 v61, 2, v52
	global_load_dwordx4 v[52:55], v61, s[8:9] offset:952
	global_load_dwordx2 v[58:59], v61, s[8:9] offset:968
	v_mul_lo_u32 v9, s3, v6
	v_mul_lo_u32 v60, s2, v7
	v_mad_u64_u32 v[6:7], s[2:3], s2, v6, 0
	s_movk_i32 s3, 0x3574
	s_movk_i32 s12, 0x3a52
	v_add3_u32 v7, v7, v60, v9
	s_mov_b32 s4, 0xbcab
	s_movk_i32 s7, 0x3b00
	s_mov_b32 s6, 0xb574
	s_mov_b32 s10, 0xb9e0
	s_movk_i32 s11, 0x39e0
	s_movk_i32 s2, 0x370e
	v_lshlrev_b64 v[6:7], 2, v[6:7]
	v_lshlrev_b64 v[4:5], 2, v[4:5]
	s_movk_i32 s5, 0x2b26
	s_waitcnt vmcnt(3) lgkmcnt(7)
	v_mul_f16_sdwa v9, v44, v48 dst_sel:DWORD dst_unused:UNUSED_PAD src0_sel:DWORD src1_sel:WORD_1
	s_waitcnt vmcnt(2) lgkmcnt(4)
	v_mul_f16_sdwa v60, v46, v57 dst_sel:DWORD dst_unused:UNUSED_PAD src0_sel:DWORD src1_sel:WORD_1
	s_waitcnt lgkmcnt(0)
	v_mul_f16_sdwa v61, v47, v51 dst_sel:DWORD dst_unused:UNUSED_PAD src0_sel:DWORD src1_sel:WORD_1
	v_mul_f16_sdwa v62, v43, v50 dst_sel:DWORD dst_unused:UNUSED_PAD src0_sel:DWORD src1_sel:WORD_1
	;; [unrolled: 1-line block ×10, first 2 shown]
	v_fma_f16 v9, v30, v48, -v9
	v_fma_f16 v30, v32, v57, -v60
	;; [unrolled: 1-line block ×6, first 2 shown]
	v_fma_f16 v33, v46, v57, v65
	v_fma_f16 v44, v44, v48, v66
	;; [unrolled: 1-line block ×6, first 2 shown]
	v_sub_f16_e32 v47, v9, v30
	v_sub_f16_e32 v48, v32, v28
	;; [unrolled: 1-line block ×3, first 2 shown]
	v_add_f16_e32 v50, v44, v33
	v_add_f16_e32 v56, v42, v45
	;; [unrolled: 1-line block ×5, first 2 shown]
	v_sub_f16_e32 v30, v44, v33
	v_sub_f16_e32 v31, v46, v43
	;; [unrolled: 1-line block ×3, first 2 shown]
	v_add_f16_e32 v51, v46, v43
	v_add_f16_e32 v46, v50, v56
	;; [unrolled: 1-line block ×3, first 2 shown]
	v_sub_f16_e32 v61, v30, v31
	v_sub_f16_e32 v62, v31, v32
	v_add_f16_e32 v31, v31, v32
	v_sub_f16_e32 v33, v47, v48
	v_sub_f16_e32 v42, v48, v49
	v_add_f16_e32 v43, v48, v49
	v_sub_f16_e32 v44, v50, v51
	v_sub_f16_e32 v45, v51, v56
	;; [unrolled: 1-line block ×5, first 2 shown]
	v_add_f16_e32 v46, v51, v46
	v_add_f16_e32 v28, v28, v60
	;; [unrolled: 1-line block ×3, first 2 shown]
	v_sub_f16_e32 v30, v32, v30
	v_mul_f16_e32 v42, 0xb846, v42
	v_add_f16_e32 v43, v47, v43
	v_mul_f16_e32 v47, 0x3a52, v44
	v_mul_f16_e32 v45, 0x2b26, v45
	;; [unrolled: 1-line block ×5, first 2 shown]
	v_add_f16_e32 v41, v41, v46
	v_add_f16_e32 v27, v27, v28
	v_mul_f16_e32 v66, 0x3b00, v49
	v_sub_f16_e32 v50, v56, v50
	v_sub_f16_e32 v9, v29, v9
	v_mul_f16_e32 v32, 0x3b00, v30
	v_fma_f16 v62, v33, s3, v42
	v_fma_f16 v44, v44, s12, v45
	;; [unrolled: 1-line block ×4, first 2 shown]
	v_fma_f16 v33, v33, s6, -v66
	v_fma_f16 v47, v50, s10, -v47
	;; [unrolled: 1-line block ×6, first 2 shown]
	v_fma_f16 v48, v48, s12, v57
	v_fma_f16 v62, v43, s2, v62
	v_add_f16_e32 v44, v44, v46
	v_fma_f16 v33, v43, s2, v33
	v_add_f16_e32 v47, v47, v46
	v_add_f16_e32 v29, v29, v28
	v_fma_f16 v32, v31, s2, v32
	v_fma_f16 v45, v50, s11, -v45
	v_fma_f16 v30, v31, s2, v30
	v_add_f16_e32 v9, v9, v28
	v_add_f16_e32 v48, v48, v28
	;; [unrolled: 1-line block ×4, first 2 shown]
	v_sub_f16_e32 v51, v29, v32
	v_add_f16_e32 v45, v45, v46
	v_fma_f16 v42, v49, s7, -v42
	v_add_f16_e32 v28, v30, v9
	v_sub_f16_e32 v30, v9, v30
	v_sub_f16_e32 v33, v47, v33
	v_add_f16_e32 v29, v32, v29
	v_sub_f16_e32 v32, v44, v62
	s_waitcnt vmcnt(1)
	v_mul_f16_sdwa v9, v39, v52 dst_sel:DWORD dst_unused:UNUSED_PAD src0_sel:DWORD src1_sel:WORD_1
	s_waitcnt vmcnt(0)
	v_mul_f16_sdwa v44, v40, v59 dst_sel:DWORD dst_unused:UNUSED_PAD src0_sel:DWORD src1_sel:WORD_1
	v_mul_f16_sdwa v46, v35, v55 dst_sel:DWORD dst_unused:UNUSED_PAD src0_sel:DWORD src1_sel:WORD_1
	;; [unrolled: 1-line block ×5, first 2 shown]
	v_fma_f16 v63, v61, s3, v60
	v_fma_f16 v42, v43, s2, v42
	v_fma_f16 v9, v25, v52, -v9
	v_fma_f16 v44, v26, v59, -v44
	v_fma_f16 v46, v21, v55, -v46
	v_fma_f16 v47, v23, v54, -v47
	v_fma_f16 v50, v22, v53, -v50
	v_fma_f16 v57, v24, v58, -v57
	v_mul_f16_sdwa v26, v26, v59 dst_sel:DWORD dst_unused:UNUSED_PAD src0_sel:DWORD src1_sel:WORD_1
	v_mul_f16_sdwa v25, v25, v52 dst_sel:DWORD dst_unused:UNUSED_PAD src0_sel:DWORD src1_sel:WORD_1
	;; [unrolled: 1-line block ×6, first 2 shown]
	v_fma_f16 v63, v31, s2, v63
	v_sub_f16_e32 v43, v45, v42
	v_add_f16_e32 v31, v42, v45
	v_sub_f16_e32 v45, v9, v44
	v_sub_f16_e32 v60, v50, v57
	v_fma_f16 v26, v40, v59, v26
	v_fma_f16 v25, v39, v52, v25
	;; [unrolled: 1-line block ×6, first 2 shown]
	v_add_f16_e32 v9, v9, v44
	v_add_f16_e32 v50, v50, v57
	;; [unrolled: 1-line block ×7, first 2 shown]
	v_sub_f16_e32 v25, v25, v26
	v_sub_f16_e32 v21, v21, v23
	v_sub_f16_e32 v22, v22, v24
	v_sub_f16_e32 v65, v48, v63
	v_add_f16_e32 v42, v63, v48
	v_sub_f16_e32 v48, v46, v47
	v_sub_f16_e32 v46, v9, v44
	;; [unrolled: 1-line block ×3, first 2 shown]
	v_add_f16_e32 v44, v44, v54
	v_sub_f16_e32 v23, v25, v21
	v_sub_f16_e32 v24, v21, v22
	v_add_f16_e32 v21, v21, v22
	v_sub_f16_e32 v22, v22, v25
	v_sub_f16_e32 v38, v35, v36
	v_add_f16_e32 v52, v39, v36
	v_mul_f16_e32 v47, 0x3a52, v46
	v_mul_f16_e32 v53, 0x2b26, v53
	v_add_f16_e32 v54, v20, v44
	v_mul_f16_e32 v24, 0xb846, v24
	v_add_f16_e32 v21, v25, v21
	v_sub_f16_e32 v9, v50, v9
	v_mul_f16_e32 v25, 0x3b00, v22
	v_sub_f16_e32 v37, v39, v35
	v_mul_f16_e32 v38, 0x2b26, v38
	v_add_f16_e32 v35, v35, v52
	v_fma_f16 v46, v46, s12, v53
	v_fma_f16 v20, v44, s4, v54
	;; [unrolled: 1-line block ×3, first 2 shown]
	v_fma_f16 v47, v9, s10, -v47
	v_fma_f16 v23, v23, s6, -v25
	;; [unrolled: 1-line block ×4, first 2 shown]
	v_sub_f16_e32 v49, v45, v48
	v_sub_f16_e32 v61, v48, v60
	v_add_f16_e32 v48, v48, v60
	v_mul_f16_e32 v40, 0x3a52, v37
	v_fma_f16 v37, v37, s12, v38
	v_add_f16_e32 v34, v34, v35
	v_add_f16_e32 v44, v46, v20
	v_fma_f16 v26, v21, s2, v26
	v_sub_f16_e32 v36, v36, v39
	v_add_f16_e32 v47, v47, v20
	v_fma_f16 v23, v21, s2, v23
	v_fma_f16 v22, v21, s2, v22
	v_add_f16_e32 v9, v9, v20
	v_mad_u64_u32 v[20:21], s[12:13], s20, v8, 0
	v_mul_f16_e32 v61, 0xb846, v61
	v_add_f16_e32 v48, v45, v48
	v_fma_f16 v35, v35, s4, v34
	v_sub_f16_e32 v45, v60, v45
	v_fma_f16 v39, v36, s10, -v40
	v_fma_f16 v36, v36, s11, -v38
	v_add_f16_e32 v37, v37, v35
	v_add_f16_e32 v39, v39, v35
	;; [unrolled: 1-line block ×3, first 2 shown]
	v_fma_f16 v36, v45, s7, -v61
	v_fma_f16 v36, v48, s2, v36
	v_fma_f16 v62, v49, s3, v61
	v_sub_f16_e32 v38, v35, v36
	v_add_f16_e32 v24, v22, v9
	v_add_f16_e32 v35, v36, v35
	v_sub_f16_e32 v36, v9, v22
	v_mov_b32_e32 v9, v21
	v_fma_f16 v62, v48, s2, v62
	v_mad_u64_u32 v[21:22], s[12:13], s21, v8, v[9:10]
	v_add_f16_e32 v52, v62, v37
	v_mul_f16_e32 v55, 0x3b00, v45
	v_sub_f16_e32 v25, v47, v23
	v_add_f16_e32 v45, v23, v47
	v_sub_f16_e32 v9, v37, v62
	v_mov_b32_e32 v22, s15
	v_add_co_u32_e32 v23, vcc, s14, v6
	v_add_u32_e32 v37, 0xff, v8
	v_addc_co_u32_e32 v22, vcc, v22, v7, vcc
	v_mad_u64_u32 v[6:7], s[12:13], s20, v37, 0
	v_add_co_u32_e32 v4, vcc, v23, v4
	v_addc_co_u32_e32 v5, vcc, v22, v5, vcc
	v_lshlrev_b64 v[20:21], 2, v[20:21]
	v_mad_u64_u32 v[22:23], s[12:13], s21, v37, v[7:8]
	v_add_co_u32_e32 v20, vcc, v4, v20
	v_addc_co_u32_e32 v21, vcc, v5, v21, vcc
	v_pack_b32_f16 v7, v54, v34
	global_store_dword v[20:21], v7, off
	v_mov_b32_e32 v7, v22
	v_add_u32_e32 v22, 0x1fe, v8
	v_mad_u64_u32 v[20:21], s[12:13], s20, v22, 0
	v_sub_f16_e32 v46, v44, v26
	v_add_f16_e32 v26, v26, v44
	v_pack_b32_f16 v26, v26, v9
	v_mov_b32_e32 v9, v21
	v_mad_u64_u32 v[21:22], s[12:13], s21, v22, v[9:10]
	v_add_u32_e32 v34, 0x2fd, v8
	v_mad_u64_u32 v[22:23], s[12:13], s20, v34, 0
	v_lshlrev_b64 v[6:7], 2, v[6:7]
	v_fma_f16 v49, v49, s6, -v55
	v_add_co_u32_e32 v6, vcc, v4, v6
	v_addc_co_u32_e32 v7, vcc, v5, v7, vcc
	v_mov_b32_e32 v9, v23
	global_store_dword v[6:7], v26, off
	v_lshlrev_b64 v[6:7], 2, v[20:21]
	v_mad_u64_u32 v[20:21], s[12:13], s21, v34, v[9:10]
	v_fma_f16 v49, v48, s2, v49
	v_add_f16_e32 v40, v49, v39
	v_sub_f16_e32 v39, v39, v49
	v_add_co_u32_e32 v6, vcc, v4, v6
	v_addc_co_u32_e32 v7, vcc, v5, v7, vcc
	v_pack_b32_f16 v9, v45, v39
	v_mov_b32_e32 v23, v20
	global_store_dword v[6:7], v9, off
	v_lshlrev_b64 v[6:7], 2, v[22:23]
	v_add_u32_e32 v22, 0x3fc, v8
	v_mad_u64_u32 v[20:21], s[12:13], s20, v22, 0
	v_add_u32_e32 v34, 0x4fb, v8
	v_add_co_u32_e32 v6, vcc, v4, v6
	v_mov_b32_e32 v9, v21
	v_mad_u64_u32 v[21:22], s[12:13], s21, v22, v[9:10]
	v_mad_u64_u32 v[22:23], s[12:13], s20, v34, 0
	v_addc_co_u32_e32 v7, vcc, v5, v7, vcc
	v_pack_b32_f16 v26, v36, v35
	v_mov_b32_e32 v9, v23
	global_store_dword v[6:7], v26, off
	v_lshlrev_b64 v[6:7], 2, v[20:21]
	v_mad_u64_u32 v[20:21], s[12:13], s21, v34, v[9:10]
	v_add_co_u32_e32 v6, vcc, v4, v6
	v_addc_co_u32_e32 v7, vcc, v5, v7, vcc
	v_pack_b32_f16 v9, v24, v38
	v_mov_b32_e32 v23, v20
	global_store_dword v[6:7], v9, off
	v_lshlrev_b64 v[6:7], 2, v[22:23]
	v_add_u32_e32 v22, 0x5fa, v8
	v_mad_u64_u32 v[20:21], s[12:13], s20, v22, 0
	s_mov_b32 s12, 0x80808081
	v_mul_hi_u32 v23, v1, s12
	v_mov_b32_e32 v9, v21
	s_movk_i32 s14, 0x5fa
	v_mad_u64_u32 v[21:22], s[12:13], s21, v22, v[9:10]
	v_lshrrev_b32_e32 v9, 7, v23
	v_mad_u32_u24 v9, v9, s14, v1
	v_mad_u64_u32 v[22:23], s[12:13], s20, v9, 0
	v_add_co_u32_e32 v6, vcc, v4, v6
	v_addc_co_u32_e32 v7, vcc, v5, v7, vcc
	v_pack_b32_f16 v24, v25, v40
	v_mov_b32_e32 v1, v23
	global_store_dword v[6:7], v24, off
	v_lshlrev_b64 v[6:7], 2, v[20:21]
	v_mad_u64_u32 v[20:21], s[12:13], s21, v9, v[1:2]
	v_add_co_u32_e32 v6, vcc, v4, v6
	v_addc_co_u32_e32 v7, vcc, v5, v7, vcc
	v_pack_b32_f16 v1, v46, v52
	v_mov_b32_e32 v23, v20
	global_store_dword v[6:7], v1, off
	v_lshlrev_b64 v[6:7], 2, v[22:23]
	v_add_u32_e32 v22, 0xff, v9
	v_mad_u64_u32 v[20:21], s[12:13], s20, v22, 0
	v_add_u32_e32 v25, 0x1fe, v9
	v_add_co_u32_e32 v6, vcc, v4, v6
	v_mov_b32_e32 v1, v21
	v_mad_u64_u32 v[21:22], s[12:13], s21, v22, v[1:2]
	v_mad_u64_u32 v[22:23], s[12:13], s20, v25, 0
	v_addc_co_u32_e32 v7, vcc, v5, v7, vcc
	v_pack_b32_f16 v24, v27, v41
	v_mov_b32_e32 v1, v23
	global_store_dword v[6:7], v24, off
	v_lshlrev_b64 v[6:7], 2, v[20:21]
	v_mad_u64_u32 v[20:21], s[12:13], s21, v25, v[1:2]
	v_add_co_u32_e32 v6, vcc, v4, v6
	v_addc_co_u32_e32 v7, vcc, v5, v7, vcc
	v_pack_b32_f16 v1, v42, v32
	v_mov_b32_e32 v23, v20
	global_store_dword v[6:7], v1, off
	v_lshlrev_b64 v[6:7], 2, v[22:23]
	v_add_u32_e32 v22, 0x2fd, v9
	v_mad_u64_u32 v[20:21], s[12:13], s20, v22, 0
	v_add_u32_e32 v25, 0x3fc, v9
	v_add_co_u32_e32 v6, vcc, v4, v6
	v_mov_b32_e32 v1, v21
	v_mad_u64_u32 v[21:22], s[12:13], s21, v22, v[1:2]
	v_mad_u64_u32 v[22:23], s[12:13], s20, v25, 0
	;; [unrolled: 19-line block ×3, first 2 shown]
	v_addc_co_u32_e32 v7, vcc, v5, v7, vcc
	v_pack_b32_f16 v24, v28, v43
	v_mov_b32_e32 v1, v23
	global_store_dword v[6:7], v24, off
	v_lshlrev_b64 v[6:7], 2, v[20:21]
	v_mad_u64_u32 v[20:21], s[12:13], s21, v9, v[1:2]
	v_add_co_u32_e32 v6, vcc, v4, v6
	v_addc_co_u32_e32 v7, vcc, v5, v7, vcc
	v_pack_b32_f16 v1, v51, v56
	v_mov_b32_e32 v23, v20
	global_store_dword v[6:7], v1, off
	v_lshlrev_b64 v[6:7], 2, v[22:23]
	v_pack_b32_f16 v1, v65, v64
	v_add_co_u32_e32 v6, vcc, v4, v6
	v_addc_co_u32_e32 v7, vcc, v5, v7, vcc
	global_store_dword v[6:7], v1, off
	s_and_b64 exec, exec, s[0:1]
	s_cbranch_execz .LBB0_22
; %bb.21:
	v_subrev_u32_e32 v1, 17, v8
	v_cndmask_b32_e64 v1, v1, v0, s[0:1]
	v_mul_i32_i24_e32 v6, 6, v1
	v_mov_b32_e32 v7, 0
	v_lshlrev_b64 v[6:7], 2, v[6:7]
	v_mov_b32_e32 v1, s9
	v_add_co_u32_e32 v6, vcc, s8, v6
	v_addc_co_u32_e32 v7, vcc, v1, v7, vcc
	global_load_dwordx4 v[20:23], v[6:7], off offset:952
	global_load_dwordx2 v[24:25], v[6:7], off offset:968
	v_lshrrev_b32_e32 v1, 16, v3
	v_lshrrev_b32_e32 v6, 16, v2
	s_waitcnt vmcnt(1)
	v_mul_f16_sdwa v7, v2, v20 dst_sel:DWORD dst_unused:UNUSED_PAD src0_sel:DWORD src1_sel:WORD_1
	v_mul_f16_sdwa v9, v3, v20 dst_sel:DWORD dst_unused:UNUSED_PAD src0_sel:DWORD src1_sel:WORD_1
	;; [unrolled: 1-line block ×6, first 2 shown]
	s_waitcnt vmcnt(0)
	v_mul_f16_sdwa v32, v18, v24 dst_sel:DWORD dst_unused:UNUSED_PAD src0_sel:DWORD src1_sel:WORD_1
	v_mul_f16_sdwa v33, v13, v24 dst_sel:DWORD dst_unused:UNUSED_PAD src0_sel:DWORD src1_sel:WORD_1
	;; [unrolled: 1-line block ×6, first 2 shown]
	v_fma_f16 v3, v3, v20, -v7
	v_fma_f16 v2, v2, v20, v9
	v_fma_f16 v1, v1, v21, -v26
	v_fma_f16 v6, v6, v21, v27
	;; [unrolled: 2-line block ×5, first 2 shown]
	v_fma_f16 v9, v19, v22, v29
	v_fma_f16 v12, v12, v23, -v30
	v_add_f16_e32 v18, v3, v11
	v_add_f16_e32 v19, v2, v16
	v_sub_f16_e32 v3, v3, v11
	v_sub_f16_e32 v2, v2, v16
	v_add_f16_e32 v11, v1, v13
	v_add_f16_e32 v16, v6, v17
	v_sub_f16_e32 v1, v1, v13
	v_sub_f16_e32 v6, v6, v17
	;; [unrolled: 4-line block ×4, first 2 shown]
	v_sub_f16_e32 v18, v18, v13
	v_sub_f16_e32 v19, v19, v17
	;; [unrolled: 1-line block ×4, first 2 shown]
	v_add_f16_e32 v22, v7, v1
	v_add_f16_e32 v23, v9, v6
	v_sub_f16_e32 v24, v7, v1
	v_sub_f16_e32 v25, v9, v6
	;; [unrolled: 1-line block ×4, first 2 shown]
	v_add_f16_e32 v12, v13, v12
	v_add_f16_e32 v13, v17, v14
	v_sub_f16_e32 v7, v3, v7
	v_sub_f16_e32 v9, v2, v9
	v_add_f16_e32 v3, v22, v3
	v_add_f16_e32 v2, v23, v2
	v_mul_f16_e32 v14, 0x3a52, v18
	v_mul_f16_e32 v17, 0x3a52, v19
	;; [unrolled: 1-line block ×8, first 2 shown]
	v_add_f16_e32 v10, v10, v12
	v_add_f16_e32 v15, v15, v13
	v_fma_f16 v11, v11, s5, v14
	v_fma_f16 v16, v16, s5, v17
	v_fma_f16 v18, v20, s11, -v18
	v_fma_f16 v19, v21, s11, -v19
	;; [unrolled: 1-line block ×4, first 2 shown]
	v_fma_f16 v20, v7, s3, v22
	v_fma_f16 v21, v9, s3, v23
	v_fma_f16 v1, v1, s7, -v22
	v_fma_f16 v6, v6, s7, -v23
	;; [unrolled: 1-line block ×3, first 2 shown]
	v_fma_f16 v12, v12, s4, v10
	v_fma_f16 v13, v13, s4, v15
	v_fma_f16 v9, v9, s6, -v25
	v_add_f16_e32 v11, v11, v12
	v_add_f16_e32 v16, v16, v13
	;; [unrolled: 1-line block ×6, first 2 shown]
	v_fma_f16 v14, v3, s2, v20
	v_fma_f16 v17, v2, s2, v21
	;; [unrolled: 1-line block ×6, first 2 shown]
	v_mad_u64_u32 v[1:2], s[0:1], s20, v0, 0
	v_add_f16_e32 v23, v3, v12
	v_sub_f16_e32 v12, v12, v3
	v_mad_u64_u32 v[2:3], s[0:1], s21, v0, v[2:3]
	v_sub_f16_e32 v25, v18, v6
	v_add_f16_e32 v18, v6, v18
	v_add_u32_e32 v6, 0x1ed, v8
	v_lshlrev_b64 v[0:1], 2, v[1:2]
	v_mad_u64_u32 v[2:3], s[0:1], s20, v6, 0
	v_sub_f16_e32 v24, v13, v7
	v_add_f16_e32 v13, v7, v13
	v_mad_u64_u32 v[6:7], s[0:1], s21, v6, v[3:4]
	v_add_u32_e32 v7, 0x2ec, v8
	v_pack_b32_f16 v15, v10, v15
	v_mad_u64_u32 v[9:10], s[0:1], s20, v7, 0
	v_add_co_u32_e32 v0, vcc, v4, v0
	v_addc_co_u32_e32 v1, vcc, v5, v1, vcc
	v_mov_b32_e32 v3, v6
	global_store_dword v[0:1], v15, off
	v_lshlrev_b64 v[0:1], 2, v[2:3]
	v_mov_b32_e32 v2, v10
	v_mad_u64_u32 v[2:3], s[0:1], s21, v7, v[2:3]
	v_add_f16_e32 v21, v17, v11
	v_sub_f16_e32 v22, v16, v14
	v_add_co_u32_e32 v0, vcc, v4, v0
	v_addc_co_u32_e32 v1, vcc, v5, v1, vcc
	v_pack_b32_f16 v3, v21, v22
	v_add_u32_e32 v6, 0x3eb, v8
	global_store_dword v[0:1], v3, off
	v_mov_b32_e32 v10, v2
	v_mad_u64_u32 v[2:3], s[0:1], s20, v6, 0
	v_lshlrev_b64 v[0:1], 2, v[9:10]
	v_pack_b32_f16 v15, v23, v24
	v_mad_u64_u32 v[6:7], s[0:1], s21, v6, v[3:4]
	v_add_u32_e32 v7, 0x4ea, v8
	v_mad_u64_u32 v[9:10], s[0:1], s20, v7, 0
	v_add_co_u32_e32 v0, vcc, v4, v0
	v_addc_co_u32_e32 v1, vcc, v5, v1, vcc
	v_mov_b32_e32 v3, v6
	global_store_dword v[0:1], v15, off
	v_lshlrev_b64 v[0:1], 2, v[2:3]
	v_mov_b32_e32 v2, v10
	v_mad_u64_u32 v[2:3], s[0:1], s21, v7, v[2:3]
	v_add_f16_e32 v26, v20, v19
	v_add_co_u32_e32 v0, vcc, v4, v0
	v_addc_co_u32_e32 v1, vcc, v5, v1, vcc
	v_pack_b32_f16 v3, v25, v26
	v_add_u32_e32 v6, 0x5e9, v8
	global_store_dword v[0:1], v3, off
	v_mov_b32_e32 v10, v2
	v_mad_u64_u32 v[2:3], s[0:1], s20, v6, 0
	v_lshlrev_b64 v[0:1], 2, v[9:10]
	v_add_u32_e32 v10, 0x6e8, v8
	v_mad_u64_u32 v[6:7], s[0:1], s21, v6, v[3:4]
	v_mad_u64_u32 v[7:8], s[0:1], s20, v10, 0
	v_sub_f16_e32 v19, v19, v20
	v_add_co_u32_e32 v0, vcc, v4, v0
	v_addc_co_u32_e32 v1, vcc, v5, v1, vcc
	v_pack_b32_f16 v9, v18, v19
	v_mov_b32_e32 v3, v6
	global_store_dword v[0:1], v9, off
	v_lshlrev_b64 v[0:1], 2, v[2:3]
	v_mov_b32_e32 v2, v8
	v_mad_u64_u32 v[2:3], s[0:1], s21, v10, v[2:3]
	v_add_co_u32_e32 v0, vcc, v4, v0
	v_addc_co_u32_e32 v1, vcc, v5, v1, vcc
	v_pack_b32_f16 v3, v12, v13
	v_mov_b32_e32 v8, v2
	global_store_dword v[0:1], v3, off
	v_lshlrev_b64 v[0:1], 2, v[7:8]
	v_sub_f16_e32 v11, v11, v17
	v_add_f16_e32 v14, v14, v16
	v_add_co_u32_e32 v0, vcc, v4, v0
	v_addc_co_u32_e32 v1, vcc, v5, v1, vcc
	v_pack_b32_f16 v2, v11, v14
	global_store_dword v[0:1], v2, off
.LBB0_22:
	s_endpgm
	.section	.rodata,"a",@progbits
	.p2align	6, 0x0
	.amdhsa_kernel fft_rtc_fwd_len1785_factors_17_3_5_7_wgs_119_tpt_119_halfLds_half_op_CI_CI_sbrr_dirReg
		.amdhsa_group_segment_fixed_size 0
		.amdhsa_private_segment_fixed_size 0
		.amdhsa_kernarg_size 104
		.amdhsa_user_sgpr_count 6
		.amdhsa_user_sgpr_private_segment_buffer 1
		.amdhsa_user_sgpr_dispatch_ptr 0
		.amdhsa_user_sgpr_queue_ptr 0
		.amdhsa_user_sgpr_kernarg_segment_ptr 1
		.amdhsa_user_sgpr_dispatch_id 0
		.amdhsa_user_sgpr_flat_scratch_init 0
		.amdhsa_user_sgpr_private_segment_size 0
		.amdhsa_uses_dynamic_stack 0
		.amdhsa_system_sgpr_private_segment_wavefront_offset 0
		.amdhsa_system_sgpr_workgroup_id_x 1
		.amdhsa_system_sgpr_workgroup_id_y 0
		.amdhsa_system_sgpr_workgroup_id_z 0
		.amdhsa_system_sgpr_workgroup_info 0
		.amdhsa_system_vgpr_workitem_id 0
		.amdhsa_next_free_vgpr 89
		.amdhsa_next_free_sgpr 53
		.amdhsa_reserve_vcc 1
		.amdhsa_reserve_flat_scratch 0
		.amdhsa_float_round_mode_32 0
		.amdhsa_float_round_mode_16_64 0
		.amdhsa_float_denorm_mode_32 3
		.amdhsa_float_denorm_mode_16_64 3
		.amdhsa_dx10_clamp 1
		.amdhsa_ieee_mode 1
		.amdhsa_fp16_overflow 0
		.amdhsa_exception_fp_ieee_invalid_op 0
		.amdhsa_exception_fp_denorm_src 0
		.amdhsa_exception_fp_ieee_div_zero 0
		.amdhsa_exception_fp_ieee_overflow 0
		.amdhsa_exception_fp_ieee_underflow 0
		.amdhsa_exception_fp_ieee_inexact 0
		.amdhsa_exception_int_div_zero 0
	.end_amdhsa_kernel
	.text
.Lfunc_end0:
	.size	fft_rtc_fwd_len1785_factors_17_3_5_7_wgs_119_tpt_119_halfLds_half_op_CI_CI_sbrr_dirReg, .Lfunc_end0-fft_rtc_fwd_len1785_factors_17_3_5_7_wgs_119_tpt_119_halfLds_half_op_CI_CI_sbrr_dirReg
                                        ; -- End function
	.section	.AMDGPU.csdata,"",@progbits
; Kernel info:
; codeLenInByte = 14384
; NumSgprs: 57
; NumVgprs: 89
; ScratchSize: 0
; MemoryBound: 0
; FloatMode: 240
; IeeeMode: 1
; LDSByteSize: 0 bytes/workgroup (compile time only)
; SGPRBlocks: 7
; VGPRBlocks: 22
; NumSGPRsForWavesPerEU: 57
; NumVGPRsForWavesPerEU: 89
; Occupancy: 2
; WaveLimiterHint : 1
; COMPUTE_PGM_RSRC2:SCRATCH_EN: 0
; COMPUTE_PGM_RSRC2:USER_SGPR: 6
; COMPUTE_PGM_RSRC2:TRAP_HANDLER: 0
; COMPUTE_PGM_RSRC2:TGID_X_EN: 1
; COMPUTE_PGM_RSRC2:TGID_Y_EN: 0
; COMPUTE_PGM_RSRC2:TGID_Z_EN: 0
; COMPUTE_PGM_RSRC2:TIDIG_COMP_CNT: 0
	.type	__hip_cuid_611b4527754b6fe9,@object ; @__hip_cuid_611b4527754b6fe9
	.section	.bss,"aw",@nobits
	.globl	__hip_cuid_611b4527754b6fe9
__hip_cuid_611b4527754b6fe9:
	.byte	0                               ; 0x0
	.size	__hip_cuid_611b4527754b6fe9, 1

	.ident	"AMD clang version 19.0.0git (https://github.com/RadeonOpenCompute/llvm-project roc-6.4.0 25133 c7fe45cf4b819c5991fe208aaa96edf142730f1d)"
	.section	".note.GNU-stack","",@progbits
	.addrsig
	.addrsig_sym __hip_cuid_611b4527754b6fe9
	.amdgpu_metadata
---
amdhsa.kernels:
  - .args:
      - .actual_access:  read_only
        .address_space:  global
        .offset:         0
        .size:           8
        .value_kind:     global_buffer
      - .offset:         8
        .size:           8
        .value_kind:     by_value
      - .actual_access:  read_only
        .address_space:  global
        .offset:         16
        .size:           8
        .value_kind:     global_buffer
      - .actual_access:  read_only
        .address_space:  global
        .offset:         24
        .size:           8
        .value_kind:     global_buffer
      - .actual_access:  read_only
        .address_space:  global
        .offset:         32
        .size:           8
        .value_kind:     global_buffer
      - .offset:         40
        .size:           8
        .value_kind:     by_value
      - .actual_access:  read_only
        .address_space:  global
        .offset:         48
        .size:           8
        .value_kind:     global_buffer
      - .actual_access:  read_only
        .address_space:  global
        .offset:         56
        .size:           8
        .value_kind:     global_buffer
      - .offset:         64
        .size:           4
        .value_kind:     by_value
      - .actual_access:  read_only
        .address_space:  global
        .offset:         72
        .size:           8
        .value_kind:     global_buffer
      - .actual_access:  read_only
        .address_space:  global
        .offset:         80
        .size:           8
        .value_kind:     global_buffer
      - .actual_access:  read_only
        .address_space:  global
        .offset:         88
        .size:           8
        .value_kind:     global_buffer
      - .actual_access:  write_only
        .address_space:  global
        .offset:         96
        .size:           8
        .value_kind:     global_buffer
    .group_segment_fixed_size: 0
    .kernarg_segment_align: 8
    .kernarg_segment_size: 104
    .language:       OpenCL C
    .language_version:
      - 2
      - 0
    .max_flat_workgroup_size: 119
    .name:           fft_rtc_fwd_len1785_factors_17_3_5_7_wgs_119_tpt_119_halfLds_half_op_CI_CI_sbrr_dirReg
    .private_segment_fixed_size: 0
    .sgpr_count:     57
    .sgpr_spill_count: 0
    .symbol:         fft_rtc_fwd_len1785_factors_17_3_5_7_wgs_119_tpt_119_halfLds_half_op_CI_CI_sbrr_dirReg.kd
    .uniform_work_group_size: 1
    .uses_dynamic_stack: false
    .vgpr_count:     89
    .vgpr_spill_count: 0
    .wavefront_size: 64
amdhsa.target:   amdgcn-amd-amdhsa--gfx906
amdhsa.version:
  - 1
  - 2
...

	.end_amdgpu_metadata
